;; amdgpu-corpus repo=ROCm/rocFFT kind=compiled arch=gfx1201 opt=O3
	.text
	.amdgcn_target "amdgcn-amd-amdhsa--gfx1201"
	.amdhsa_code_object_version 6
	.protected	bluestein_single_back_len1309_dim1_half_op_CI_CI ; -- Begin function bluestein_single_back_len1309_dim1_half_op_CI_CI
	.globl	bluestein_single_back_len1309_dim1_half_op_CI_CI
	.p2align	8
	.type	bluestein_single_back_len1309_dim1_half_op_CI_CI,@function
bluestein_single_back_len1309_dim1_half_op_CI_CI: ; @bluestein_single_back_len1309_dim1_half_op_CI_CI
; %bb.0:
	s_load_b128 s[8:11], s[0:1], 0x28
	v_mul_u32_u24_e32 v1, 0x227, v0
	s_mov_b32 s2, exec_lo
	v_mov_b32_e32 v17, 0
	s_delay_alu instid0(VALU_DEP_2) | instskip(NEXT) | instid1(VALU_DEP_1)
	v_lshrrev_b32_e32 v1, 16, v1
	v_add_nc_u32_e32 v16, ttmp9, v1
	s_wait_kmcnt 0x0
	s_delay_alu instid0(VALU_DEP_1)
	v_cmpx_gt_u64_e64 s[8:9], v[16:17]
	s_cbranch_execz .LBB0_23
; %bb.1:
	s_clause 0x1
	s_load_b64 s[8:9], s[0:1], 0x0
	s_load_b64 s[12:13], s[0:1], 0x38
	v_mul_lo_u16 v1, 0x77, v1
	s_delay_alu instid0(VALU_DEP_1) | instskip(NEXT) | instid1(VALU_DEP_1)
	v_sub_nc_u16 v0, v0, v1
	v_and_b32_e32 v46, 0xffff, v0
	v_cmp_gt_u16_e32 vcc_lo, 0x4d, v0
	s_delay_alu instid0(VALU_DEP_2)
	v_lshlrev_b32_e32 v45, 2, v46
	s_and_saveexec_b32 s3, vcc_lo
	s_cbranch_execz .LBB0_3
; %bb.2:
	s_load_b64 s[4:5], s[0:1], 0x18
	s_delay_alu instid0(VALU_DEP_1)
	v_add_nc_u32_e32 v38, 0xc00, v45
	s_wait_kmcnt 0x0
	s_load_b128 s[4:7], s[4:5], 0x0
	s_wait_kmcnt 0x0
	v_mad_co_u64_u32 v[0:1], null, s6, v16, 0
	v_mad_co_u64_u32 v[2:3], null, s4, v46, 0
	s_delay_alu instid0(VALU_DEP_1) | instskip(NEXT) | instid1(VALU_DEP_1)
	v_mad_co_u64_u32 v[4:5], null, s7, v16, v[1:2]
	v_mad_co_u64_u32 v[5:6], null, s5, v46, v[3:4]
	v_mov_b32_e32 v1, v4
	s_mul_u64 s[4:5], s[4:5], 0x134
	s_clause 0x7
	global_load_b32 v6, v45, s[8:9]
	global_load_b32 v7, v45, s[8:9] offset:308
	global_load_b32 v8, v45, s[8:9] offset:616
	;; [unrolled: 1-line block ×7, first 2 shown]
	v_lshlrev_b64_e32 v[0:1], 2, v[0:1]
	v_mov_b32_e32 v3, v5
	s_delay_alu instid0(VALU_DEP_2) | instskip(NEXT) | instid1(VALU_DEP_2)
	v_add_co_u32 v0, s2, s10, v0
	v_lshlrev_b64_e32 v[2:3], 2, v[2:3]
	s_delay_alu instid0(VALU_DEP_4) | instskip(NEXT) | instid1(VALU_DEP_2)
	v_add_co_ci_u32_e64 v1, s2, s11, v1, s2
	v_add_co_u32 v0, s2, v0, v2
	s_wait_alu 0xf1ff
	s_delay_alu instid0(VALU_DEP_2)
	v_add_co_ci_u32_e64 v1, s2, v1, v3, s2
	global_load_b32 v14, v[0:1], off
	s_wait_alu 0xfffe
	v_add_co_u32 v0, s2, v0, s4
	s_wait_alu 0xf1ff
	v_add_co_ci_u32_e64 v1, s2, s5, v1, s2
	s_clause 0x7
	global_load_b32 v15, v45, s[8:9] offset:2464
	global_load_b32 v17, v45, s[8:9] offset:2772
	global_load_b32 v18, v45, s[8:9] offset:3080
	global_load_b32 v19, v45, s[8:9] offset:3388
	global_load_b32 v20, v45, s[8:9] offset:3696
	global_load_b32 v21, v45, s[8:9] offset:4004
	global_load_b32 v22, v45, s[8:9] offset:4312
	global_load_b32 v23, v45, s[8:9] offset:4620
	global_load_b32 v24, v[0:1], off
	v_add_co_u32 v0, s2, v0, s4
	s_wait_alu 0xf1ff
	v_add_co_ci_u32_e64 v1, s2, s5, v1, s2
	global_load_b32 v25, v45, s[8:9] offset:4928
	v_add_co_u32 v2, s2, v0, s4
	s_wait_alu 0xf1ff
	v_add_co_ci_u32_e64 v3, s2, s5, v1, s2
	global_load_b32 v26, v[0:1], off
	v_add_co_u32 v0, s2, v2, s4
	s_wait_alu 0xf1ff
	v_add_co_ci_u32_e64 v1, s2, s5, v3, s2
	s_clause 0x1
	global_load_b32 v27, v[2:3], off
	global_load_b32 v28, v[0:1], off
	v_add_co_u32 v0, s2, v0, s4
	s_wait_alu 0xf1ff
	v_add_co_ci_u32_e64 v1, s2, s5, v1, s2
	s_delay_alu instid0(VALU_DEP_2) | instskip(SKIP_1) | instid1(VALU_DEP_2)
	v_add_co_u32 v2, s2, v0, s4
	s_wait_alu 0xf1ff
	v_add_co_ci_u32_e64 v3, s2, s5, v1, s2
	global_load_b32 v29, v[0:1], off
	v_add_co_u32 v0, s2, v2, s4
	s_wait_alu 0xf1ff
	v_add_co_ci_u32_e64 v1, s2, s5, v3, s2
	global_load_b32 v30, v[2:3], off
	global_load_b32 v31, v[0:1], off
	v_add_co_u32 v0, s2, v0, s4
	s_wait_alu 0xf1ff
	v_add_co_ci_u32_e64 v1, s2, s5, v1, s2
	s_delay_alu instid0(VALU_DEP_2) | instskip(SKIP_1) | instid1(VALU_DEP_2)
	v_add_co_u32 v2, s2, v0, s4
	s_wait_alu 0xf1ff
	v_add_co_ci_u32_e64 v3, s2, s5, v1, s2
	global_load_b32 v32, v[0:1], off
	global_load_b32 v33, v[2:3], off
	v_add_co_u32 v0, s2, v2, s4
	s_wait_alu 0xf1ff
	v_add_co_ci_u32_e64 v1, s2, s5, v3, s2
	s_delay_alu instid0(VALU_DEP_2) | instskip(SKIP_1) | instid1(VALU_DEP_2)
	v_add_co_u32 v2, s2, v0, s4
	s_wait_alu 0xf1ff
	v_add_co_ci_u32_e64 v3, s2, s5, v1, s2
	global_load_b32 v34, v[0:1], off
	v_add_co_u32 v0, s2, v2, s4
	s_wait_alu 0xf1ff
	v_add_co_ci_u32_e64 v1, s2, s5, v3, s2
	global_load_b32 v35, v[2:3], off
	;; [unrolled: 4-line block ×4, first 2 shown]
	v_add_co_u32 v2, s2, v0, s4
	s_wait_alu 0xf1ff
	v_add_co_ci_u32_e64 v3, s2, s5, v1, s2
	s_delay_alu instid0(VALU_DEP_2) | instskip(SKIP_1) | instid1(VALU_DEP_2)
	v_add_co_u32 v4, s2, v2, s4
	s_wait_alu 0xf1ff
	v_add_co_ci_u32_e64 v5, s2, s5, v3, s2
	global_load_b32 v0, v[0:1], off
	global_load_b32 v1, v[2:3], off
	;; [unrolled: 1-line block ×3, first 2 shown]
	v_add_nc_u32_e32 v3, 0x400, v45
	v_add_nc_u32_e32 v4, 0x600, v45
	;; [unrolled: 1-line block ×3, first 2 shown]
	s_wait_loadcnt 0x21
	v_lshrrev_b32_e32 v39, 16, v6
	s_wait_loadcnt 0x20
	v_lshrrev_b32_e32 v40, 16, v7
	;; [unrolled: 2-line block ×11, first 2 shown]
	v_lshrrev_b32_e32 v54, 16, v14
	v_mul_f16_e32 v58, v39, v14
	s_wait_loadcnt 0x15
	v_lshrrev_b32_e32 v52, 16, v19
	s_wait_loadcnt 0x14
	v_lshrrev_b32_e32 v53, 16, v20
	;; [unrolled: 2-line block ×3, first 2 shown]
	v_mul_f16_e32 v39, v39, v54
	s_wait_loadcnt 0x10
	v_lshrrev_b32_e32 v59, 16, v24
	v_mul_f16_e32 v61, v40, v24
	v_fma_f16 v54, v6, v54, -v58
	v_lshrrev_b32_e32 v56, 16, v22
	v_fmac_f16_e32 v39, v6, v14
	v_mul_f16_e32 v6, v40, v59
	v_fma_f16 v40, v7, v59, -v61
	v_lshrrev_b32_e32 v57, 16, v23
	s_wait_loadcnt 0xf
	v_lshrrev_b32_e32 v60, 16, v25
	s_wait_loadcnt 0xe
	v_lshrrev_b32_e32 v14, 16, v26
	v_mul_f16_e32 v58, v41, v26
	v_fmac_f16_e32 v6, v7, v24
	v_pack_b32_f16 v39, v39, v54
	s_delay_alu instid0(VALU_DEP_4)
	v_mul_f16_e32 v7, v41, v14
	s_wait_loadcnt 0xd
	v_lshrrev_b32_e32 v24, 16, v27
	v_mul_f16_e32 v41, v42, v27
	v_fma_f16 v14, v8, v14, -v58
	v_pack_b32_f16 v6, v6, v40
	v_fmac_f16_e32 v7, v8, v26
	v_mul_f16_e32 v8, v42, v24
	s_wait_loadcnt 0xc
	v_lshrrev_b32_e32 v26, 16, v28
	v_fma_f16 v24, v9, v24, -v41
	v_mul_f16_e32 v40, v43, v28
	ds_store_2addr_b32 v45, v39, v6 offset1:77
	v_pack_b32_f16 v6, v7, v14
	v_fmac_f16_e32 v8, v9, v27
	v_mul_f16_e32 v7, v43, v26
	s_wait_loadcnt 0xb
	v_lshrrev_b32_e32 v9, 16, v29
	v_mul_f16_e32 v14, v44, v29
	v_fma_f16 v26, v10, v26, -v40
	v_pack_b32_f16 v8, v8, v24
	v_fmac_f16_e32 v7, v10, v28
	v_mul_f16_e32 v10, v44, v9
	v_fma_f16 v9, v11, v9, -v14
	s_wait_loadcnt 0xa
	v_lshrrev_b32_e32 v14, 16, v30
	v_mul_f16_e32 v24, v47, v30
	ds_store_2addr_b32 v45, v6, v8 offset0:154 offset1:231
	v_pack_b32_f16 v6, v7, v26
	v_fmac_f16_e32 v10, v11, v29
	v_mul_f16_e32 v7, v47, v14
	s_wait_loadcnt 0x9
	v_lshrrev_b32_e32 v8, 16, v31
	v_mul_f16_e32 v11, v48, v31
	v_fma_f16 v14, v12, v14, -v24
	v_pack_b32_f16 v9, v10, v9
	v_fmac_f16_e32 v7, v12, v30
	v_mul_f16_e32 v10, v48, v8
	v_fma_f16 v8, v13, v8, -v11
	s_wait_loadcnt 0x8
	v_lshrrev_b32_e32 v11, 16, v32
	ds_store_2addr_b32 v3, v6, v9 offset0:52 offset1:129
	v_pack_b32_f16 v3, v7, v14
	v_fmac_f16_e32 v10, v13, v31
	s_wait_loadcnt 0x7
	v_lshrrev_b32_e32 v7, 16, v33
	v_mul_f16_e32 v9, v50, v33
	v_mul_f16_e32 v12, v49, v32
	;; [unrolled: 1-line block ×3, first 2 shown]
	v_pack_b32_f16 v8, v10, v8
	v_mul_f16_e32 v10, v50, v7
	v_fma_f16 v7, v17, v7, -v9
	s_wait_loadcnt 0x6
	v_lshrrev_b32_e32 v9, 16, v34
	v_fma_f16 v11, v15, v11, -v12
	v_fmac_f16_e32 v6, v15, v32
	v_mul_f16_e32 v12, v51, v34
	ds_store_2addr_b32 v4, v3, v8 offset0:78 offset1:155
	v_mul_f16_e32 v4, v51, v9
	v_fmac_f16_e32 v10, v17, v33
	v_pack_b32_f16 v3, v6, v11
	s_wait_loadcnt 0x5
	v_lshrrev_b32_e32 v6, 16, v35
	v_fma_f16 v8, v18, v9, -v12
	v_mul_f16_e32 v9, v52, v35
	v_fmac_f16_e32 v4, v18, v34
	s_wait_loadcnt 0x4
	v_lshrrev_b32_e32 v11, 16, v36
	v_pack_b32_f16 v7, v10, v7
	v_mul_f16_e32 v10, v52, v6
	v_fma_f16 v6, v19, v6, -v9
	v_mul_f16_e32 v9, v53, v36
	v_pack_b32_f16 v4, v4, v8
	v_mul_f16_e32 v8, v53, v11
	v_fmac_f16_e32 v10, v19, v35
	s_wait_loadcnt 0x3
	v_lshrrev_b32_e32 v12, 16, v37
	v_mul_f16_e32 v13, v55, v37
	v_fma_f16 v9, v20, v11, -v9
	v_fmac_f16_e32 v8, v20, v36
	v_pack_b32_f16 v6, v10, v6
	v_mul_f16_e32 v10, v55, v12
	v_fma_f16 v11, v21, v12, -v13
	s_wait_loadcnt 0x2
	v_lshrrev_b32_e32 v12, 16, v0
	v_mul_f16_e32 v13, v56, v0
	v_pack_b32_f16 v8, v8, v9
	s_wait_loadcnt 0x1
	v_lshrrev_b32_e32 v9, 16, v1
	s_wait_loadcnt 0x0
	v_lshrrev_b32_e32 v14, 16, v2
	v_mul_f16_e32 v15, v56, v12
	v_fma_f16 v12, v22, v12, -v13
	v_mul_f16_e32 v13, v57, v1
	v_mul_f16_e32 v17, v57, v9
	;; [unrolled: 1-line block ×4, first 2 shown]
	v_fmac_f16_e32 v10, v21, v37
	v_fmac_f16_e32 v15, v22, v0
	v_fma_f16 v0, v23, v9, -v13
	v_fmac_f16_e32 v17, v23, v1
	v_fmac_f16_e32 v18, v25, v2
	v_fma_f16 v1, v25, v14, -v19
	v_pack_b32_f16 v2, v10, v11
	v_pack_b32_f16 v9, v15, v12
	;; [unrolled: 1-line block ×3, first 2 shown]
	v_add_nc_u32_e32 v10, 0x1000, v45
	v_pack_b32_f16 v1, v18, v1
	ds_store_2addr_b32 v5, v3, v7 offset0:104 offset1:181
	ds_store_2addr_b32 v38, v4, v6 offset0:2 offset1:79
	;; [unrolled: 1-line block ×4, first 2 shown]
	ds_store_b32 v45, v1 offset:4928
.LBB0_3:
	s_or_b32 exec_lo, exec_lo, s3
	global_wb scope:SCOPE_SE
	s_wait_dscnt 0x0
	s_wait_kmcnt 0x0
	s_barrier_signal -1
	s_barrier_wait -1
	global_inv scope:SCOPE_SE
                                        ; implicit-def: $vgpr0
                                        ; implicit-def: $vgpr6
                                        ; implicit-def: $vgpr31
                                        ; implicit-def: $vgpr4
                                        ; implicit-def: $vgpr30
                                        ; implicit-def: $vgpr29
                                        ; implicit-def: $vgpr2
                                        ; implicit-def: $vgpr22
                                        ; implicit-def: $vgpr21
                                        ; implicit-def: $vgpr19
                                        ; implicit-def: $vgpr20
                                        ; implicit-def: $vgpr32
                                        ; implicit-def: $vgpr9
                                        ; implicit-def: $vgpr33
                                        ; implicit-def: $vgpr34
                                        ; implicit-def: $vgpr11
                                        ; implicit-def: $vgpr35
                                        ; implicit-def: $vgpr36
                                        ; implicit-def: $vgpr13
                                        ; implicit-def: $vgpr37
                                        ; implicit-def: $vgpr38
                                        ; implicit-def: $vgpr15
                                        ; implicit-def: $vgpr39
                                        ; implicit-def: $vgpr40
                                        ; implicit-def: $vgpr41
	s_and_saveexec_b32 s2, vcc_lo
	s_cbranch_execz .LBB0_5
; %bb.4:
	v_add_nc_u32_e32 v2, 0x400, v45
	v_add_nc_u32_e32 v3, 0x600, v45
	;; [unrolled: 1-line block ×3, first 2 shown]
	ds_load_2addr_b32 v[0:1], v45 offset1:77
	ds_load_2addr_b32 v[14:15], v45 offset0:154 offset1:231
	ds_load_2addr_b32 v[12:13], v2 offset0:52 offset1:129
	v_add_nc_u32_e32 v2, 0xc00, v45
	ds_load_2addr_b32 v[10:11], v3 offset0:78 offset1:155
	ds_load_2addr_b32 v[8:9], v4 offset0:104 offset1:181
	v_add_nc_u32_e32 v3, 0x1000, v45
	ds_load_2addr_b32 v[6:7], v2 offset0:2 offset1:79
	ds_load_2addr_b32 v[4:5], v2 offset0:156 offset1:233
	;; [unrolled: 1-line block ×3, first 2 shown]
	ds_load_b32 v19, v45 offset:4928
	s_wait_dscnt 0x8
	v_lshrrev_b32_e32 v41, 16, v1
	s_wait_dscnt 0x7
	v_lshrrev_b32_e32 v40, 16, v14
	v_lshrrev_b32_e32 v39, 16, v15
	s_wait_dscnt 0x6
	v_lshrrev_b32_e32 v38, 16, v12
	;; [unrolled: 3-line block ×8, first 2 shown]
.LBB0_5:
	s_wait_alu 0xfffe
	s_or_b32 exec_lo, exec_lo, s2
	s_delay_alu instid0(VALU_DEP_1)
	v_sub_f16_e32 v47, v41, v20
	v_add_f16_e32 v67, v19, v1
	v_sub_f16_e32 v50, v40, v21
	v_add_f16_e32 v64, v3, v14
	v_sub_f16_e32 v48, v39, v22
	v_mul_f16_e32 v42, 0xb964, v47
	v_mul_f16_e32 v44, 0xbb29, v47
	;; [unrolled: 1-line block ×5, first 2 shown]
	v_fmamk_f16 v17, v67, 0x39e9, v42
	v_fmamk_f16 v18, v67, 0x3722, v44
	;; [unrolled: 1-line block ×4, first 2 shown]
	v_mul_f16_e32 v52, 0xba62, v50
	v_add_f16_e32 v17, v17, v0
	v_mul_f16_e32 v69, 0x3bb2, v50
	v_fmamk_f16 v24, v67, 0xb461, v57
	v_add_f16_e32 v18, v18, v0
	v_add_f16_e32 v25, v25, v0
	v_mul_f16_e32 v59, 0x3836, v50
	v_add_f16_e32 v17, v26, v17
	v_fmamk_f16 v26, v64, 0xb8d2, v52
	v_add_f16_e32 v68, v2, v15
	v_mul_f16_e32 v53, 0xba62, v48
	v_fmamk_f16 v49, v64, 0xb461, v69
	v_mul_f16_e32 v73, 0xb5c8, v48
	v_add_f16_e32 v24, v24, v0
	v_fmamk_f16 v28, v64, 0xbacd, v59
	v_add_f16_e32 v18, v26, v18
	v_fmamk_f16 v26, v68, 0xb8d2, v53
	v_add_f16_e32 v25, v49, v25
	v_mul_f16_e32 v63, 0x3964, v48
	v_sub_f16_e32 v49, v38, v29
	v_fmamk_f16 v51, v68, 0x3b76, v73
	v_add_f16_e32 v24, v28, v24
	v_mul_f16_e32 v54, 0x31e1, v48
	v_add_f16_e32 v17, v26, v17
	v_fmamk_f16 v26, v68, 0x39e9, v63
	v_add_f16_e32 v74, v5, v12
	v_mul_f16_e32 v55, 0xb1e1, v49
	v_add_f16_e32 v25, v51, v25
	v_sub_f16_e32 v51, v37, v30
	v_mul_f16_e32 v81, 0xb836, v49
	v_fmamk_f16 v28, v68, 0xbbdd, v54
	v_add_f16_e32 v24, v26, v24
	v_mul_f16_e32 v58, 0x3bb2, v49
	v_mul_f16_e32 v70, 0xbb29, v49
	v_fmamk_f16 v26, v74, 0xbbdd, v55
	v_add_f16_e32 v77, v4, v13
	v_mul_f16_e32 v56, 0x3836, v51
	v_fmamk_f16 v62, v74, 0xbacd, v81
	v_add_f16_e32 v18, v28, v18
	v_fmamk_f16 v28, v74, 0xb461, v58
	v_fmamk_f16 v60, v74, 0x3722, v70
	v_add_f16_e32 v17, v26, v17
	v_fmamk_f16 v26, v77, 0xbacd, v56
	v_add_f16_e32 v25, v62, v25
	v_mul_f16_e32 v62, 0x3964, v51
	v_mul_f16_e32 v76, 0xb1e1, v51
	;; [unrolled: 1-line block ×3, first 2 shown]
	v_sub_f16_e32 v72, v36, v32
	v_add_f16_e32 v18, v28, v18
	v_add_f16_e32 v24, v60, v24
	;; [unrolled: 1-line block ×3, first 2 shown]
	v_fmamk_f16 v26, v77, 0x39e9, v62
	v_fmamk_f16 v28, v77, 0xbbdd, v76
	;; [unrolled: 1-line block ×3, first 2 shown]
	v_add_f16_e32 v80, v7, v10
	v_mul_f16_e32 v60, 0x3bb2, v72
	v_mul_f16_e32 v66, 0xb5c8, v72
	v_sub_f16_e32 v78, v35, v31
	v_add_f16_e32 v18, v26, v18
	v_add_f16_e32 v24, v28, v24
	;; [unrolled: 1-line block ×3, first 2 shown]
	v_fmamk_f16 v26, v80, 0xb461, v60
	v_mul_f16_e32 v89, 0x3bf7, v72
	v_fmamk_f16 v28, v80, 0x3b76, v66
	v_mul_f16_e32 v98, 0xb964, v72
	v_add_f16_e32 v90, v6, v11
	v_mul_f16_e32 v65, 0x3b29, v78
	v_fmamk_f16 v71, v80, 0x2de8, v89
	v_add_f16_e32 v17, v26, v17
	v_add_f16_e32 v18, v28, v18
	v_fmamk_f16 v26, v80, 0x39e9, v98
	v_fmamk_f16 v28, v90, 0x3722, v65
	v_mul_f16_e32 v75, 0xbbf7, v78
	v_mul_f16_e32 v91, 0xb5c8, v78
	v_sub_f16_e32 v82, v34, v33
	v_mul_f16_e32 v23, 0xb836, v47
	v_add_f16_e32 v24, v71, v24
	v_add_f16_e32 v25, v26, v25
	;; [unrolled: 1-line block ×3, first 2 shown]
	v_fmamk_f16 v26, v90, 0x2de8, v75
	v_fmamk_f16 v28, v90, 0x3b76, v91
	v_mul_f16_e32 v102, 0xb1e1, v78
	v_add_f16_e32 v97, v9, v8
	v_mul_f16_e32 v71, 0x35c8, v82
	v_mul_f16_e32 v84, 0xb1e1, v47
	v_fma_f16 v27, v67, 0xbacd, -v23
	v_mul_f16_e32 v79, 0xb836, v82
	v_add_f16_e32 v26, v26, v18
	v_add_f16_e32 v24, v28, v24
	v_fmamk_f16 v18, v90, 0xbbdd, v102
	v_fmamk_f16 v28, v97, 0x3b76, v71
	v_mul_f16_e32 v85, 0x3b29, v50
	v_fma_f16 v86, v67, 0xbbdd, -v84
	v_mul_f16_e32 v87, 0x35c8, v50
	v_fmamk_f16 v83, v97, 0xbacd, v79
	v_add_f16_e32 v25, v18, v25
	v_add_f16_e32 v18, v28, v17
	;; [unrolled: 1-line block ×3, first 2 shown]
	v_fma_f16 v28, v64, 0x3722, -v85
	v_add_f16_e32 v86, v86, v0
	v_fma_f16 v92, v64, 0x3b76, -v87
	v_mul_f16_e32 v93, 0xbbf7, v48
	v_mul_f16_e32 v94, 0xb836, v48
	v_add_f16_e32 v17, v83, v26
	v_add_f16_e32 v26, v28, v27
	;; [unrolled: 1-line block ×3, first 2 shown]
	v_fma_f16 v28, v68, 0x2de8, -v93
	v_fma_f16 v83, v68, 0xbacd, -v94
	v_mul_f16_e32 v86, 0x3a62, v49
	v_mul_f16_e32 v92, 0x3964, v49
	;; [unrolled: 1-line block ×3, first 2 shown]
	v_add_f16_e32 v26, v28, v26
	v_add_f16_e32 v27, v83, v27
	v_fma_f16 v28, v74, 0xb8d2, -v86
	v_fma_f16 v83, v74, 0x39e9, -v92
	v_mul_f16_e32 v96, 0xb5c8, v51
	v_fmamk_f16 v95, v97, 0xb8d2, v99
	v_mul_f16_e32 v104, 0xb1e1, v72
	v_add_f16_e32 v28, v28, v26
	v_add_f16_e32 v27, v83, v27
	v_fma_f16 v83, v77, 0x3b76, -v96
	v_mul_f16_e32 v100, 0xba62, v51
	v_add_f16_e32 v26, v95, v24
	v_fmac_f16_e32 v23, 0xbacd, v67
	v_fmac_f16_e32 v84, 0xbbdd, v67
	v_add_f16_e32 v24, v83, v28
	v_fma_f16 v28, v80, 0xbbdd, -v104
	v_fma_f16 v103, v77, 0xb8d2, -v100
	v_mul_f16_e32 v106, 0x3b29, v72
	v_add_f16_e32 v23, v23, v0
	v_fmac_f16_e32 v85, 0x3722, v64
	v_add_f16_e32 v24, v28, v24
	v_add_f16_e32 v28, v84, v0
	v_fmac_f16_e32 v87, 0x3b76, v64
	v_add_f16_e32 v27, v103, v27
	v_fma_f16 v83, v80, 0x3722, -v106
	v_add_f16_e32 v23, v85, v23
	v_fmac_f16_e32 v93, 0x2de8, v68
	v_add_f16_e32 v28, v87, v28
	v_fmac_f16_e32 v94, 0xbacd, v68
	v_add_f16_e32 v27, v83, v27
	v_mul_f16_e32 v83, 0x3964, v78
	v_add_f16_e32 v23, v93, v23
	v_fmac_f16_e32 v86, 0xb8d2, v74
	v_add_f16_e32 v28, v94, v28
	v_fmac_f16_e32 v92, 0x39e9, v74
	v_mul_f16_e32 v84, 0xbbb2, v78
	v_fma_f16 v85, v90, 0x39e9, -v83
	v_add_f16_e32 v23, v86, v23
	v_fmac_f16_e32 v96, 0x3b76, v77
	v_add_f16_e32 v28, v92, v28
	v_fmac_f16_e32 v100, 0xb8d2, v77
	v_fma_f16 v87, v90, 0xb461, -v84
	v_add_f16_e32 v24, v85, v24
	v_mul_f16_e32 v85, 0xbbb2, v82
	v_mul_f16_e32 v86, 0x3bf7, v82
	v_add_f16_e32 v23, v96, v23
	v_fmac_f16_e32 v104, 0xbbdd, v80
	v_add_f16_e32 v28, v100, v28
	v_fmac_f16_e32 v106, 0x3722, v80
	v_add_f16_e32 v27, v87, v27
	v_fma_f16 v87, v97, 0xb461, -v85
	v_fma_f16 v92, v97, 0x2de8, -v86
	v_add_f16_e32 v93, v104, v23
	v_fmac_f16_e32 v83, 0x39e9, v90
	v_add_f16_e32 v28, v106, v28
	v_fmac_f16_e32 v84, 0xb461, v90
	v_add_f16_e32 v23, v87, v24
	v_add_f16_e32 v24, v92, v27
	;; [unrolled: 1-line block ×3, first 2 shown]
	v_fmac_f16_e32 v85, 0xb461, v97
	v_add_f16_e32 v83, v84, v28
	v_sub_f16_e32 v84, v1, v19
	v_mul_f16_e32 v92, 0xb5c8, v47
	v_add_f16_e64 v146, v20, v41
	v_add_f16_e32 v28, v85, v27
	v_sub_f16_e32 v85, v14, v3
	v_mul_f16_e32 v94, 0xb5c8, v84
	v_mul_f16_e32 v105, 0x3b29, v82
	v_fmac_f16_e32 v86, 0x2de8, v97
	v_fmamk_f16 v27, v67, 0x3b76, v92
	v_lshrrev_b32_e32 v96, 16, v0
	v_fma_f16 v87, v146, 0x3b76, -v94
	v_add_f16_e64 v134, v21, v40
	v_mul_f16_e32 v95, 0xb964, v85
	v_mul_f16_e32 v104, 0xb964, v84
	v_fmamk_f16 v101, v97, 0x3722, v105
	v_mul_f16_e32 v93, 0xb964, v50
	v_add_f16_e32 v100, v27, v0
	v_add_f16_e32 v87, v87, v96
	v_fma_f16 v103, v134, 0x39e9, -v95
	v_add_f16_e32 v27, v86, v83
	v_fma_f16 v86, v146, 0x39e9, -v104
	v_mul_f16_e32 v109, 0xbb29, v84
	v_add_f16_e32 v25, v101, v25
	v_fmamk_f16 v101, v64, 0x39e9, v93
	v_add_f16_e32 v87, v103, v87
	v_mul_f16_e32 v103, 0xbbf7, v85
	v_mul_f16_e32 v114, 0xbbf7, v47
	v_add_f16_e32 v47, v86, v96
	v_fma_f16 v86, v146, 0x3722, -v109
	v_mul_f16_e32 v111, 0xba62, v85
	v_add_f16_e32 v83, v101, v100
	v_fma_f16 v100, v134, 0x2de8, -v103
	v_fmamk_f16 v101, v67, 0x2de8, v114
	v_mul_f16_e32 v113, 0xb1e1, v50
	v_add_f16_e32 v50, v86, v96
	v_fma_f16 v86, v134, 0xb8d2, -v111
	v_mul_f16_e32 v119, 0xbbf7, v84
	v_mul_f16_e64 v132, 0xbbb2, v84
	v_add_f16_e32 v101, v101, v0
	v_fmamk_f16 v106, v64, 0xbbdd, v113
	v_add_f16_e32 v47, v100, v47
	v_add_f16_e32 v50, v86, v50
	v_fma_f16 v86, v146, 0x2de8, -v119
	v_mul_f16_e32 v120, 0xb1e1, v85
	v_mul_f16_e64 v142, 0xba62, v84
	v_fma_f16 v100, v146, 0xb461, -v132
	v_mul_f16_e64 v133, 0x3836, v85
	v_add_f16_e32 v106, v106, v101
	v_add_f16_e32 v86, v86, v96
	v_fma_f16 v101, v134, 0xbbdd, -v120
	v_fma_f16 v107, v146, 0xb8d2, -v142
	v_mul_f16_e64 v143, 0x3bb2, v85
	v_add_f16_e32 v100, v100, v96
	v_fma_f16 v108, v134, 0xbacd, -v133
	v_mul_f16_e32 v110, 0xb836, v84
	v_add_f16_e32 v107, v107, v96
	v_fma_f16 v112, v134, 0xb461, -v143
	v_add_f16_e32 v86, v101, v86
	v_add_f16_e32 v108, v108, v100
	v_fma_f16 v100, 0xbacd, v146, v110
	v_mul_f16_e32 v84, 0xb1e1, v84
	v_mul_f16_e32 v101, 0x3b29, v85
	v_fma_f16 v110, v146, 0xbacd, -v110
	v_add_f16_e32 v107, v112, v107
	v_mul_f16_e32 v85, 0x35c8, v85
	v_fma_f16 v112, 0xbbdd, v146, v84
	v_fma_f16 v115, 0x3722, v134, v101
	v_add_f16_e32 v110, v110, v96
	v_fma_f16 v101, v134, 0x3722, -v101
	v_fma_f16 v84, v146, 0xbbdd, -v84
	v_sub_f16_e32 v117, v15, v2
	v_add_f16_e32 v100, v100, v96
	v_fma_f16 v116, 0x3b76, v134, v85
	v_add_f16_e32 v110, v101, v110
	v_add_f16_e32 v84, v84, v96
	v_fma_f16 v85, v134, 0x3b76, -v85
	v_add_f16_e64 v145, v22, v39
	v_mul_f16_e32 v101, 0xbb29, v117
	v_add_f16_e32 v112, v112, v96
	v_add_f16_e32 v115, v115, v100
	v_mul_f16_e32 v100, 0xbb29, v48
	v_add_f16_e32 v84, v85, v84
	v_mul_f16_e32 v121, 0x31e1, v117
	v_fma_f16 v85, v145, 0x3722, -v101
	v_mul_f16_e32 v122, 0x3bb2, v48
	v_add_f16_e32 v116, v116, v112
	v_fmamk_f16 v118, v68, 0x3722, v100
	v_mul_f16_e32 v112, 0xba62, v117
	v_fma_f16 v48, v145, 0xbbdd, -v121
	v_mul_f16_e64 v129, 0x3bb2, v117
	v_add_f16_e32 v85, v85, v87
	v_fmamk_f16 v87, v68, 0xb461, v122
	v_add_f16_e32 v83, v118, v83
	v_fma_f16 v118, v145, 0xb8d2, -v112
	v_add_f16_e32 v48, v48, v50
	v_fma_f16 v50, v145, 0xb461, -v129
	v_mul_f16_e64 v139, 0x3964, v117
	v_mul_f16_e64 v153, 0xb5c8, v117
	v_add_f16_e32 v87, v87, v106
	v_mul_f16_e32 v106, 0xbbf7, v117
	v_add_f16_e32 v47, v118, v47
	v_add_f16_e32 v50, v50, v86
	v_fma_f16 v86, v145, 0x39e9, -v139
	v_fma_f16 v118, v145, 0x3b76, -v153
	v_mul_f16_e32 v117, 0xb836, v117
	v_fma_f16 v123, 0x2de8, v145, v106
	v_fma_f16 v106, v145, 0x2de8, -v106
	v_add_f16_e32 v86, v86, v108
	v_add_f16_e32 v108, v118, v107
	v_fma_f16 v107, 0xbacd, v145, v117
	v_add_f16_e32 v115, v123, v115
	v_sub_f16_e32 v123, v12, v5
	v_add_f16_e32 v110, v106, v110
	v_mul_f16_e32 v106, 0xbbf7, v49
	v_add_f16_e32 v116, v107, v116
	v_fma_f16 v117, v145, 0xbacd, -v117
	v_add_f16_e64 v147, v29, v38
	v_mul_f16_e32 v107, 0xbbf7, v123
	v_mul_f16_e32 v126, 0x3bb2, v123
	v_fmamk_f16 v124, v74, 0x2de8, v106
	v_mul_f16_e32 v118, 0xb1e1, v123
	v_add_f16_e32 v84, v117, v84
	v_fma_f16 v117, v147, 0x2de8, -v107
	v_mul_f16_e64 v128, 0x35c8, v49
	v_fma_f16 v49, v147, 0xb461, -v126
	v_mul_f16_e64 v137, 0x35c8, v123
	v_add_f16_e32 v83, v124, v83
	v_fma_f16 v124, v147, 0xbbdd, -v118
	v_add_f16_e32 v85, v117, v85
	v_fma_f16 v117, 0x3b76, v74, v128
	v_add_f16_e32 v48, v49, v48
	v_mul_f16_e64 v149, 0xbb29, v123
	v_fma_f16 v49, v147, 0x3b76, -v137
	v_mul_f16_e64 v159, 0xb836, v123
	v_add_f16_e32 v47, v124, v47
	v_add_f16_e32 v87, v117, v87
	v_mul_f16_e32 v117, 0x3a62, v123
	v_fma_f16 v124, v147, 0x3722, -v149
	v_add_f16_e32 v49, v49, v50
	v_fma_f16 v50, v147, 0xbacd, -v159
	v_mul_f16_e32 v123, 0x3964, v123
	v_fma_f16 v125, 0xb8d2, v147, v117
	v_add_f16_e32 v86, v124, v86
	v_fma_f16 v117, v147, 0xb8d2, -v117
	v_add_f16_e32 v50, v50, v108
	v_fma_f16 v124, 0x39e9, v147, v123
	v_mul_f16_e32 v108, 0xbbb2, v51
	v_sub_f16_e32 v127, v13, v4
	v_add_f16_e32 v115, v125, v115
	v_add_f16_e32 v125, v117, v110
	;; [unrolled: 1-line block ×3, first 2 shown]
	v_fma_f16 v123, v147, 0x39e9, -v123
	v_fmamk_f16 v124, v77, 0xb461, v108
	v_add_f16_e64 v152, v30, v37
	v_mul_f16_e32 v110, 0xbbb2, v127
	v_mul_f16_e32 v117, 0x3836, v127
	v_mul_f16_e64 v135, 0x3964, v127
	v_add_f16_e32 v84, v123, v84
	v_add_f16_e32 v83, v124, v83
	v_fma_f16 v123, v152, 0xb461, -v110
	v_fma_f16 v124, v152, 0xbacd, -v117
	v_mul_f16_e64 v136, 0xbb29, v51
	v_fma_f16 v130, v152, 0x39e9, -v135
	v_mul_f16_e64 v154, 0xb1e1, v127
	v_add_f16_e32 v51, v123, v85
	v_add_f16_e32 v47, v124, v47
	v_fma_f16 v85, 0x3722, v77, v136
	v_mul_f16_e32 v124, 0xb5c8, v127
	v_mul_f16_e64 v144, 0xbb29, v127
	v_add_f16_e64 v48, v130, v48
	v_mul_f16_e64 v163, 0x3bf7, v127
	v_add_f16_e32 v85, v85, v87
	v_fma_f16 v87, v152, 0xbbdd, -v154
	v_fma_f16 v130, 0x3b76, v152, v124
	v_mul_f16_e32 v127, 0xba62, v127
	v_fma_f16 v124, v152, 0x3b76, -v124
	v_fma_f16 v123, v152, 0x3722, -v144
	v_add_f16_e32 v86, v87, v86
	v_add_f16_e64 v87, v130, v115
	v_sub_f16_e64 v130, v10, v7
	v_add_f16_e32 v124, v124, v125
	v_fma_f16 v125, v152, 0xb8d2, -v127
	v_add_f16_e32 v49, v123, v49
	v_fma_f16 v123, v152, 0x2de8, -v163
	v_mul_f16_e32 v115, 0xba62, v72
	v_add_f16_e64 v157, v32, v36
	v_add_f16_e32 v84, v125, v84
	v_mul_f16_e64 v125, 0x3bb2, v130
	v_add_f16_e32 v50, v123, v50
	v_fma_f16 v123, 0xb8d2, v152, v127
	v_fmamk_f16 v127, v80, 0xb8d2, v115
	v_mul_f16_e64 v140, 0xb5c8, v130
	v_mul_f16_e64 v141, 0xb836, v72
	v_fma_f16 v72, v157, 0xb461, -v125
	v_mul_f16_e64 v148, 0xb836, v130
	v_add_f16_e32 v123, v123, v116
	v_mul_f16_e64 v116, 0xba62, v130
	v_add_f16_e32 v83, v127, v83
	v_fma_f16 v127, v157, 0x3b76, -v140
	v_add_f16_e32 v47, v72, v47
	v_fma_f16 v72, v157, 0xbacd, -v148
	v_mul_f16_e64 v167, 0xb964, v130
	v_fma_f16 v131, v157, 0xb8d2, -v116
	v_add_f16_e32 v48, v127, v48
	v_mul_f16_e64 v160, 0x3bf7, v130
	v_mul_f16_e64 v127, 0xb1e1, v130
	v_add_f16_e32 v49, v72, v49
	v_mul_f16_e64 v72, 0x3b29, v130
	v_fma_f16 v130, v157, 0x39e9, -v167
	v_add_f16_e64 v51, v131, v51
	v_fma_f16 v131, 0xbacd, v80, v141
	v_fma_f16 v138, 0xbbdd, v157, v127
	v_fma_f16 v127, v157, 0xbbdd, -v127
	v_add_f16_e64 v50, v130, v50
	v_sub_f16_e64 v130, v11, v6
	v_add_f16_e64 v85, v131, v85
	v_fma_f16 v131, v157, 0x2de8, -v160
	v_add_f16_e64 v87, v138, v87
	v_add_f16_e64 v138, v127, v124
	v_add_f16_e64 v161, v31, v35
	v_mul_f16_e64 v124, 0xb836, v130
	v_add_f16_e64 v86, v131, v86
	v_fma_f16 v131, 0x3722, v157, v72
	v_mul_f16_e64 v150, 0xbbf7, v130
	v_fma_f16 v72, v157, 0x3722, -v72
	v_fma_f16 v151, v161, 0xbacd, -v124
	v_mul_f16_e64 v168, 0xb1e1, v130
	v_add_f16_e64 v156, v131, v123
	v_mul_f16_e32 v123, 0xb836, v78
	v_mul_f16_e64 v131, 0x3b29, v130
	v_fma_f16 v155, v161, 0x2de8, -v150
	v_add_f16_e64 v51, v151, v51
	v_mul_f16_e64 v151, 0x3a62, v78
	v_fmamk_f16 v127, v90, 0xbacd, v123
	v_add_f16_e32 v72, v72, v84
	v_fma_f16 v84, v161, 0x3722, -v131
	v_add_f16_e64 v78, v155, v48
	v_mul_f16_e64 v155, 0x3a62, v130
	v_fma_f16 v48, 0xb8d2, v90, v151
	v_add_f16_e32 v83, v127, v83
	v_add_f16_e32 v47, v84, v47
	v_mul_f16_e64 v84, 0x3964, v130
	v_fma_f16 v127, v161, 0xb8d2, -v155
	v_add_f16_e32 v85, v48, v85
	v_fma_f16 v48, v161, 0xbbdd, -v168
	v_mul_f16_e64 v165, 0xb5c8, v130
	v_fma_f16 v162, 0x39e9, v161, v84
	v_add_f16_e64 v170, v127, v49
	v_mul_f16_e64 v49, 0xbbb2, v130
	v_add_f16_e64 v171, v48, v50
	v_fma_f16 v48, v161, 0x39e9, -v84
	v_sub_f16_e32 v84, v8, v9
	v_fma_f16 v158, v161, 0x3b76, -v165
	v_fma_f16 v50, 0xb461, v161, v49
	v_fma_f16 v49, v161, 0xb461, -v49
	v_add_f16_e64 v164, v33, v34
	v_mul_f16_e64 v130, 0xb1e1, v84
	v_add_f16_e64 v172, v48, v138
	v_mul_f16_e64 v138, 0x35c8, v84
	v_add_f16_e64 v86, v158, v86
	v_add_f16_e64 v87, v162, v87
	;; [unrolled: 1-line block ×4, first 2 shown]
	v_fma_f16 v49, v164, 0xbbdd, -v130
	v_mul_f16_e64 v156, 0xb836, v84
	v_mul_f16_e64 v158, 0x3964, v82
	v_fma_f16 v50, v164, 0x3b76, -v138
	v_mul_f16_e64 v162, 0x3964, v84
	v_mul_f16_e32 v127, 0xb1e1, v82
	v_add_f16_e32 v49, v49, v51
	v_fma_f16 v51, v164, 0xbacd, -v156
	v_fma_f16 v72, 0x39e9, v97, v158
	v_mul_f16_e64 v166, 0xba62, v84
	v_add_f16_e32 v50, v50, v47
	v_fma_f16 v47, v164, 0x39e9, -v162
	s_clause 0x1
	s_load_b64 s[4:5], s[0:1], 0x20
	s_load_b64 s[2:3], s[0:1], 0x8
	v_fmamk_f16 v48, v97, 0xbbdd, v127
	v_add_f16_e32 v51, v51, v78
	v_add_f16_e32 v78, v72, v85
	v_fma_f16 v72, v164, 0xb8d2, -v166
	v_mul_f16_e64 v169, 0x3b29, v84
	v_mul_f16_e32 v85, 0xbbb2, v84
	v_add_f16_e64 v82, v47, v170
	v_mul_f16_e32 v47, 0x3bf7, v84
	v_add_f16_e32 v48, v48, v83
	v_add_f16_e32 v83, v72, v86
	v_fma_f16 v72, v164, 0x3722, -v169
	v_fma_f16 v86, 0xb461, v164, v85
	v_fma_f16 v85, v164, 0xb461, -v85
	v_fma_f16 v170, 0x2de8, v164, v47
	v_fma_f16 v47, v164, 0x2de8, -v47
	v_add_f16_e64 v84, v72, v171
	v_add_f16_e32 v72, v86, v87
	v_add_f16_e64 v85, v85, v172
	v_add_f16_e64 v87, v170, v173
	;; [unrolled: 1-line block ×3, first 2 shown]
	v_mul_lo_u16 v47, v46, 17
	global_wb scope:SCOPE_SE
	s_wait_kmcnt 0x0
	s_barrier_signal -1
	s_barrier_wait -1
	global_inv scope:SCOPE_SE
	s_and_saveexec_b32 s0, vcc_lo
	s_cbranch_execz .LBB0_7
; %bb.6:
	v_mul_f16_e64 v171, 0x3b76, v146
	v_mul_f16_e64 v173, 0x39e9, v146
	;; [unrolled: 1-line block ×10, first 2 shown]
	v_add_f16_e64 v142, v142, v146
	v_mul_f16_e64 v146, 0xb461, v134
	v_mul_f16_e64 v178, 0xb461, v67
	v_mul_f16_e32 v67, 0xb8d2, v67
	v_mul_f16_e64 v190, 0xbacd, v147
	v_add_f16_e64 v142, v142, v96
	v_add_f16_e64 v143, v143, v146
	v_mul_f16_e64 v146, 0x3b76, v145
	v_mul_f16_e64 v180, 0x39e9, v64
	;; [unrolled: 1-line block ×4, first 2 shown]
	v_add_f16_e64 v142, v143, v142
	v_add_f16_e64 v143, v153, v146
	v_mul_f16_e64 v186, 0xbbdd, v64
	v_mul_f16_e64 v188, 0xbacd, v64
	v_mul_f16_e32 v64, 0xb461, v64
	v_sub_f16_e32 v61, v67, v61
	v_add_f16_e64 v142, v143, v142
	v_add_f16_e64 v159, v159, v190
	v_mul_f16_e64 v190, 0x2de8, v152
	v_sub_f16_e32 v64, v64, v69
	v_add_f16_e32 v61, v61, v0
	v_mul_f16_e64 v181, 0x39e9, v134
	v_add_f16_e64 v142, v159, v142
	v_mul_f16_e64 v159, 0x3b76, v68
	v_add_f16_e64 v163, v163, v190
	v_add_f16_e32 v61, v64, v61
	v_mul_f16_e64 v183, 0x2de8, v134
	v_mul_f16_e64 v185, 0xb8d2, v134
	v_sub_f16_e64 v73, v159, v73
	v_mul_f16_e64 v159, 0x39e9, v157
	v_add_f16_e64 v142, v163, v142
	v_mul_f16_e64 v163, 0xbacd, v74
	v_mul_f16_e64 v187, 0xbbdd, v134
	v_add_f16_e32 v61, v73, v61
	v_add_f16_e64 v159, v167, v159
	v_mul_f16_e64 v73, 0xbbdd, v161
	v_sub_f16_e64 v81, v163, v81
	v_mul_f16_e64 v134, 0xbacd, v134
	v_add_f16_e64 v132, v132, v179
	v_add_f16_e64 v142, v159, v142
	v_mul_f16_e64 v159, 0x2de8, v77
	v_add_f16_e64 v73, v168, v73
	v_add_f16_e32 v61, v81, v61
	v_add_f16_e64 v133, v133, v134
	v_mul_f16_e64 v134, 0xbbdd, v90
	v_sub_f16_e64 v88, v159, v88
	v_add_f16_e64 v73, v73, v142
	v_mul_f16_e64 v142, 0x39e9, v80
	v_mul_f16_e64 v153, 0x3722, v145
	;; [unrolled: 1-line block ×3, first 2 shown]
	v_add_f16_e32 v61, v88, v61
	v_mul_f16_e64 v69, 0xbbdd, v145
	v_sub_f16_e64 v98, v142, v98
	v_mul_f16_e64 v64, 0xb461, v145
	v_mul_f16_e64 v145, 0x39e9, v145
	v_add_f16_e64 v132, v132, v96
	v_sub_f16_e64 v102, v134, v102
	v_add_f16_e32 v61, v98, v61
	v_sub_f16_e64 v57, v178, v57
	v_mul_f16_e64 v146, 0x3722, v68
	v_mul_f16_e64 v189, 0xb8d2, v68
	v_mul_f16_e32 v67, 0xbbdd, v68
	v_mul_f16_e64 v190, 0xb461, v68
	v_mul_f16_e32 v68, 0x39e9, v68
	v_mul_f16_e64 v163, 0x2de8, v147
	v_mul_f16_e64 v81, 0x3722, v164
	;; [unrolled: 1-line block ×6, first 2 shown]
	v_add_f16_e64 v132, v133, v132
	v_add_f16_e64 v139, v139, v145
	v_add_f16_e32 v61, v102, v61
	v_mul_f16_e32 v102, 0x3722, v97
	v_sub_f16_e64 v59, v188, v59
	v_add_f16_e32 v57, v57, v0
	v_mul_f16_e64 v167, 0x2de8, v74
	v_mul_f16_e64 v168, 0xbbdd, v74
	v_add_f16_e64 v81, v169, v81
	v_mul_f16_e64 v169, 0xb461, v74
	v_mul_f16_e64 v142, 0x3b76, v74
	v_mul_f16_e32 v74, 0x3722, v74
	v_mul_f16_e64 v134, 0xb461, v152
	v_mul_f16_e64 v145, 0xbacd, v152
	v_add_f16_e64 v132, v139, v132
	v_mul_f16_e64 v139, 0x39e9, v152
	v_add_f16_e64 v147, v149, v147
	v_sub_f16_e32 v102, v102, v105
	v_mul_f16_e64 v105, 0x3722, v152
	v_mul_f16_e64 v152, 0xbbdd, v152
	v_add_f16_e32 v57, v59, v57
	v_sub_f16_e32 v63, v68, v63
	v_add_f16_e64 v119, v119, v177
	v_mul_f16_e32 v98, 0xb461, v77
	v_mul_f16_e64 v133, 0xbacd, v77
	v_add_f16_e32 v73, v81, v73
	v_mul_f16_e32 v81, 0x39e9, v77
	v_mul_f16_e64 v149, 0x3722, v77
	v_mul_f16_e32 v77, 0xbbdd, v77
	v_add_f16_e64 v132, v147, v132
	v_add_f16_e64 v152, v154, v152
	v_mul_f16_e64 v59, 0x2de8, v157
	v_add_f16_e32 v57, v63, v57
	v_sub_f16_e32 v70, v74, v70
	v_add_f16_e64 v120, v120, v187
	v_add_f16_e32 v119, v119, v96
	v_mul_f16_e64 v147, 0xb8d2, v80
	v_mul_f16_e64 v154, 0xb461, v80
	v_add_f16_e32 v61, v102, v61
	v_mul_f16_e32 v102, 0x3b76, v80
	v_add_f16_e64 v132, v152, v132
	v_mul_f16_e32 v68, 0xbacd, v80
	v_mul_f16_e32 v80, 0x2de8, v80
	v_add_f16_e64 v59, v160, v59
	v_mul_f16_e64 v63, 0x3b76, v161
	v_add_f16_e32 v57, v70, v57
	v_sub_f16_e32 v76, v77, v76
	v_add_f16_e32 v119, v120, v119
	v_add_f16_e64 v64, v129, v64
	v_mul_f16_e64 v160, 0xbacd, v90
	v_add_f16_e64 v59, v59, v132
	v_mul_f16_e64 v132, 0x3722, v90
	v_add_f16_e64 v63, v165, v63
	v_mul_f16_e32 v70, 0x2de8, v90
	v_mul_f16_e64 v177, 0xb8d2, v90
	v_mul_f16_e32 v90, 0x3b76, v90
	v_add_f16_e32 v57, v76, v57
	v_sub_f16_e32 v80, v80, v89
	v_add_f16_e32 v64, v64, v119
	v_mul_f16_e64 v119, 0xb8d2, v164
	v_mul_f16_e64 v187, 0xbbdd, v97
	v_mul_f16_e32 v89, 0x3b76, v97
	v_mul_f16_e64 v129, 0xbacd, v97
	v_add_f16_e32 v57, v80, v57
	v_sub_f16_e32 v90, v90, v91
	v_mul_f16_e32 v91, 0x39e9, v97
	v_mul_f16_e32 v97, 0xb8d2, v97
	v_add_f16_e32 v59, v63, v59
	v_add_f16_e64 v63, v166, v119
	v_add_f16_e32 v57, v90, v57
	v_add_f16_e32 v69, v121, v69
	v_sub_f16_e32 v90, v97, v99
	v_sub_f16_e64 v99, v186, v113
	v_add_f16_e32 v59, v63, v59
	v_sub_f16_e64 v63, v176, v114
	v_add_f16_e64 v97, v144, v105
	v_add_f16_e32 v57, v90, v57
	v_add_f16_e64 v90, v109, v175
	v_add_f16_e64 v105, v111, v185
	v_add_f16_e32 v63, v63, v0
	v_add_f16_e32 v88, v126, v88
	v_sub_f16_e64 v44, v174, v44
	v_add_f16_e32 v90, v90, v96
	v_mul_f16_e64 v152, 0x3b76, v157
	v_add_f16_e32 v63, v99, v63
	v_sub_f16_e64 v99, v190, v122
	v_add_f16_e32 v44, v44, v0
	v_add_f16_e32 v90, v105, v90
	v_sub_f16_e64 v52, v184, v52
	v_sub_f16_e64 v68, v68, v141
	v_add_f16_e32 v63, v99, v63
	v_sub_f16_e64 v99, v142, v128
	v_add_f16_e32 v69, v69, v90
	v_sub_f16_e64 v90, v149, v136
	v_mul_f16_e64 v77, 0x2de8, v161
	v_add_f16_e32 v44, v52, v44
	v_add_f16_e32 v63, v99, v63
	;; [unrolled: 1-line block ×3, first 2 shown]
	v_add_f16_e64 v88, v135, v139
	v_sub_f16_e32 v52, v67, v54
	v_mul_f16_e64 v80, 0xbacd, v164
	v_add_f16_e32 v63, v90, v63
	v_sub_f16_e64 v42, v172, v42
	v_add_f16_e32 v69, v88, v69
	v_add_f16_e64 v88, v140, v152
	v_add_f16_e32 v44, v52, v44
	v_add_f16_e32 v54, v68, v63
	v_sub_f16_e64 v63, v177, v151
	v_add_f16_e64 v68, v150, v77
	v_add_f16_e32 v67, v88, v69
	v_sub_f16_e64 v52, v169, v58
	v_sub_f16_e64 v58, v91, v158
	v_add_f16_e32 v54, v63, v54
	v_add_f16_e32 v42, v42, v0
	;; [unrolled: 1-line block ×3, first 2 shown]
	v_add_f16_e64 v67, v156, v80
	v_sub_f16_e64 v43, v182, v43
	v_add_f16_e32 v54, v58, v54
	v_add_f16_e64 v58, v104, v173
	v_add_f16_e32 v44, v52, v44
	v_sub_f16_e32 v52, v81, v62
	v_add_f16_e32 v62, v67, v63
	v_add_f16_e64 v63, v103, v183
	v_add_f16_e32 v58, v58, v96
	v_add_f16_e32 v42, v43, v42
	v_sub_f16_e64 v43, v189, v53
	v_add_f16_e32 v41, v41, v96
	v_add_f16_e32 v1, v1, v0
	;; [unrolled: 1-line block ×3, first 2 shown]
	v_add_f16_e64 v63, v112, v143
	v_add_f16_e32 v42, v43, v42
	v_sub_f16_e64 v43, v168, v55
	v_add_f16_e32 v40, v40, v41
	v_add_f16_e32 v1, v14, v1
	;; [unrolled: 1-line block ×3, first 2 shown]
	v_add_f16_e64 v58, v118, v159
	v_add_f16_e32 v42, v43, v42
	v_sub_f16_e64 v14, v133, v56
	v_add_f16_e32 v39, v39, v40
	v_add_f16_e32 v1, v15, v1
	v_mul_f16_e64 v188, 0xb461, v157
	v_add_f16_e32 v53, v58, v53
	v_add_f16_e64 v55, v117, v145
	v_add_f16_e32 v14, v14, v42
	v_sub_f16_e64 v15, v154, v60
	v_add_f16_e32 v38, v38, v39
	v_add_f16_e32 v1, v12, v1
	v_mul_f16_e64 v165, 0x3722, v161
	v_add_f16_e32 v41, v55, v53
	;; [unrolled: 7-line block ×3, first 2 shown]
	v_add_f16_e64 v12, v131, v165
	v_add_f16_e32 v14, v15, v14
	v_add_f16_e32 v15, v36, v37
	;; [unrolled: 1-line block ×3, first 2 shown]
	v_add_f16_e64 v13, v138, v120
	v_add_f16_e32 v12, v12, v40
	v_sub_f16_e32 v10, v89, v71
	v_add_f16_e32 v15, v35, v15
	v_add_f16_e32 v1, v11, v1
	v_sub_f16_e64 v11, v170, v92
	v_add_f16_e32 v12, v13, v12
	v_add_f16_e64 v13, v94, v171
	v_add_f16_e32 v10, v10, v14
	v_add_f16_e32 v14, v34, v15
	;; [unrolled: 1-line block ×3, first 2 shown]
	v_add_f16_e64 v8, v95, v181
	v_add_f16_e32 v13, v13, v96
	v_add_f16_e32 v0, v11, v0
	v_sub_f16_e64 v11, v180, v93
	v_add_f16_e32 v14, v33, v14
	v_add_f16_e32 v1, v9, v1
	v_add_f16_e32 v8, v8, v13
	v_add_f16_e64 v9, v101, v153
	v_add_f16_e32 v0, v11, v0
	v_add_f16_e32 v11, v31, v14
	;; [unrolled: 1-line block ×3, first 2 shown]
	v_sub_f16_e64 v6, v146, v100
	v_add_f16_e32 v8, v9, v8
	v_add_f16_e64 v9, v107, v163
	v_add_f16_e32 v11, v32, v11
	v_add_f16_e32 v1, v7, v1
	;; [unrolled: 1-line block ×3, first 2 shown]
	v_sub_f16_e64 v6, v167, v106
	v_add_f16_e32 v7, v9, v8
	v_add_f16_e32 v8, v30, v11
	;; [unrolled: 1-line block ×3, first 2 shown]
	v_add_f16_e64 v137, v137, v179
	v_mul_f16_e64 v178, 0xb8d2, v157
	v_add_f16_e64 v4, v110, v134
	v_add_f16_e32 v0, v6, v0
	v_sub_f16_e32 v6, v98, v108
	v_add_f16_e32 v8, v29, v8
	v_add_f16_e32 v1, v5, v1
	v_mul_f16_e64 v157, 0xbacd, v157
	v_add_f16_e64 v64, v137, v64
	v_mul_f16_e64 v74, 0xbacd, v161
	v_add_f16_e32 v4, v4, v7
	v_add_f16_e64 v5, v116, v178
	v_add_f16_e32 v0, v6, v0
	v_add_f16_e32 v6, v22, v8
	;; [unrolled: 1-line block ×3, first 2 shown]
	v_sub_f16_e64 v2, v147, v115
	v_mul_f16_e64 v161, 0xb8d2, v161
	v_add_f16_e32 v64, v97, v64
	v_add_f16_e64 v97, v148, v157
	v_add_f16_e32 v44, v52, v44
	v_sub_f16_e32 v52, v102, v66
	v_add_f16_e32 v4, v5, v4
	v_add_f16_e32 v5, v124, v74
	;; [unrolled: 1-line block ×4, first 2 shown]
	v_mul_f16_e64 v76, 0xbbdd, v164
	v_add_f16_e32 v0, v2, v0
	v_sub_f16_e64 v2, v160, v123
	v_mul_f16_e64 v164, 0x39e9, v164
	v_add_f16_e32 v64, v97, v64
	v_add_f16_e64 v97, v155, v161
	v_add_f16_e32 v44, v52, v44
	v_sub_f16_e32 v52, v70, v75
	v_add_f16_e32 v3, v5, v4
	v_add_f16_e32 v4, v20, v6
	;; [unrolled: 1-line block ×3, first 2 shown]
	v_add_f16_e64 v5, v130, v76
	v_add_f16_e32 v0, v2, v0
	v_sub_f16_e64 v2, v187, v127
	v_add_f16_e32 v64, v97, v64
	v_add_f16_e64 v97, v162, v164
	v_add_f16_e32 v44, v52, v44
	v_sub_f16_e64 v52, v129, v79
	v_lshlrev_b32_e32 v4, 16, v4
	v_and_b32_e32 v1, 0xffff, v1
	v_and_b32_e32 v6, 0xffff, v47
	v_add_f16_e32 v3, v5, v3
	v_add_f16_e32 v0, v2, v0
	;; [unrolled: 1-line block ×4, first 2 shown]
	v_or_b32_e32 v1, v4, v1
	v_lshlrev_b32_e32 v4, 2, v6
	v_pack_b32_f16 v5, v10, v12
	v_pack_b32_f16 v0, v0, v3
	;; [unrolled: 1-line block ×6, first 2 shown]
	ds_store_b32 v4, v1
	ds_store_2addr_b32 v4, v0, v5 offset0:1 offset1:2
	ds_store_2addr_b32 v4, v2, v3 offset0:3 offset1:4
	ds_store_2addr_b32 v4, v7, v6 offset0:5 offset1:6
	v_perm_b32 v0, v87, v24, 0x5040100
	v_perm_b32 v1, v72, v23, 0x5040100
	;; [unrolled: 1-line block ×10, first 2 shown]
	ds_store_2addr_b32 v4, v1, v0 offset0:7 offset1:8
	ds_store_2addr_b32 v4, v3, v2 offset0:9 offset1:10
	;; [unrolled: 1-line block ×5, first 2 shown]
.LBB0_7:
	s_wait_alu 0xfffe
	s_or_b32 exec_lo, exec_lo, s0
	v_add_nc_u32_e32 v0, 0x500, v45
	v_add_nc_u32_e32 v1, 0xb00, v45
	global_wb scope:SCOPE_SE
	s_wait_dscnt 0x0
	s_barrier_signal -1
	s_barrier_wait -1
	global_inv scope:SCOPE_SE
	ds_load_2addr_b32 v[8:9], v45 offset1:187
	ds_load_2addr_b32 v[12:13], v0 offset0:54 offset1:241
	ds_load_2addr_b32 v[10:11], v1 offset0:44 offset1:231
	ds_load_b32 v14, v45 offset:4488
	v_cmp_gt_u16_e64 s0, 0x44, v46
	s_delay_alu instid0(VALU_DEP_1)
	s_and_saveexec_b32 s1, s0
	s_cbranch_execz .LBB0_9
; %bb.8:
	v_add_nc_u32_e32 v0, 0x100, v45
	v_add_nc_u32_e32 v1, 0x700, v45
	;; [unrolled: 1-line block ×3, first 2 shown]
	ds_load_2addr_b32 v[23:24], v0 offset0:55 offset1:242
	ds_load_2addr_b32 v[27:28], v1 offset0:45 offset1:232
	;; [unrolled: 1-line block ×3, first 2 shown]
	ds_load_b32 v78, v45 offset:4964
	s_wait_dscnt 0x3
	v_lshrrev_b32_e32 v72, 16, v23
	v_lshrrev_b32_e32 v87, 16, v24
	s_wait_dscnt 0x2
	v_lshrrev_b32_e32 v86, 16, v27
	v_lshrrev_b32_e32 v85, 16, v28
	;; [unrolled: 3-line block ×3, first 2 shown]
	s_wait_dscnt 0x0
	v_lshrrev_b32_e32 v82, 16, v78
.LBB0_9:
	s_wait_alu 0xfffe
	s_or_b32 exec_lo, exec_lo, s1
	v_and_b32_e32 v0, 0xff, v46
	s_wait_dscnt 0x3
	v_lshrrev_b32_e32 v31, 16, v9
	s_wait_dscnt 0x2
	v_lshrrev_b32_e32 v32, 16, v12
	v_lshrrev_b32_e32 v33, 16, v13
	s_wait_dscnt 0x1
	v_lshrrev_b32_e32 v34, 16, v10
	v_mul_lo_u16 v0, 0xf1, v0
	v_lshrrev_b32_e32 v35, 16, v11
	s_wait_dscnt 0x0
	v_lshrrev_b32_e32 v36, 16, v14
	v_lshrrev_b32_e32 v37, 16, v8
	v_lshrrev_b16 v15, 12, v0
	v_add_nc_u16 v0, v46, 0x77
	s_delay_alu instid0(VALU_DEP_2) | instskip(NEXT) | instid1(VALU_DEP_2)
	v_mul_lo_u16 v1, v15, 17
	v_and_b32_e32 v2, 0xff, v0
	v_and_b32_e32 v15, 0xffff, v15
	s_delay_alu instid0(VALU_DEP_3) | instskip(NEXT) | instid1(VALU_DEP_3)
	v_sub_nc_u16 v1, v46, v1
	v_mul_lo_u16 v2, 0xf1, v2
	s_delay_alu instid0(VALU_DEP_3) | instskip(NEXT) | instid1(VALU_DEP_3)
	v_mul_u32_u24_e32 v15, 0x77, v15
	v_and_b32_e32 v29, 0xff, v1
	s_delay_alu instid0(VALU_DEP_3) | instskip(NEXT) | instid1(VALU_DEP_2)
	v_lshrrev_b16 v30, 12, v2
	v_mul_u32_u24_e32 v1, 6, v29
	s_delay_alu instid0(VALU_DEP_2) | instskip(SKIP_2) | instid1(VALU_DEP_4)
	v_mul_lo_u16 v2, v30, 17
	v_and_b32_e32 v53, 0xffff, v30
	v_add_lshl_u32 v60, v15, v29, 2
	v_lshlrev_b32_e32 v1, 2, v1
	s_delay_alu instid0(VALU_DEP_4) | instskip(SKIP_4) | instid1(VALU_DEP_1)
	v_sub_nc_u16 v0, v0, v2
	s_clause 0x1
	global_load_b128 v[4:7], v1, s[2:3]
	global_load_b64 v[21:22], v1, s[2:3] offset:16
	v_and_b32_e32 v52, 0xff, v0
	v_mul_u32_u24_e32 v0, 6, v52
	s_delay_alu instid0(VALU_DEP_1)
	v_lshlrev_b32_e32 v19, 2, v0
	s_clause 0x1
	global_load_b128 v[0:3], v19, s[2:3]
	global_load_b64 v[19:20], v19, s[2:3] offset:16
	s_load_b128 s[4:7], s[4:5], 0x0
	global_wb scope:SCOPE_SE
	s_wait_loadcnt 0x0
	s_wait_kmcnt 0x0
	s_barrier_signal -1
	s_barrier_wait -1
	global_inv scope:SCOPE_SE
	v_lshrrev_b32_e32 v66, 16, v4
	v_lshrrev_b32_e32 v65, 16, v5
	;; [unrolled: 1-line block ×6, first 2 shown]
	v_mul_f16_e32 v15, v31, v66
	v_mul_f16_e32 v29, v9, v66
	;; [unrolled: 1-line block ×12, first 2 shown]
	v_lshrrev_b32_e32 v58, 16, v0
	v_lshrrev_b32_e32 v56, 16, v1
	;; [unrolled: 1-line block ×6, first 2 shown]
	v_fma_f16 v9, v9, v4, -v15
	v_fmac_f16_e32 v29, v31, v4
	v_fma_f16 v12, v12, v5, -v30
	v_fmac_f16_e32 v38, v32, v5
	;; [unrolled: 2-line block ×6, first 2 shown]
	v_mul_f16_e32 v15, v87, v58
	v_mul_f16_e32 v30, v24, v58
	;; [unrolled: 1-line block ×12, first 2 shown]
	v_fma_f16 v15, v24, v0, -v15
	v_fmac_f16_e32 v30, v87, v0
	v_fma_f16 v24, v27, v1, -v31
	v_fmac_f16_e32 v32, v86, v1
	v_fma_f16 v27, v28, v2, -v33
	v_fma_f16 v25, v25, v3, -v35
	;; [unrolled: 1-line block ×3, first 2 shown]
	v_fmac_f16_e32 v41, v83, v19
	v_fma_f16 v28, v78, v20, -v43
	v_fmac_f16_e32 v67, v82, v20
	v_add_f16_e32 v31, v9, v14
	v_add_f16_e32 v33, v29, v68
	v_sub_f16_e32 v9, v9, v14
	v_sub_f16_e32 v14, v29, v68
	v_add_f16_e32 v29, v12, v11
	v_add_f16_e32 v35, v38, v44
	v_sub_f16_e32 v11, v12, v11
	v_sub_f16_e32 v12, v38, v44
	v_add_f16_e32 v38, v13, v10
	v_sub_f16_e32 v10, v10, v13
	v_sub_f16_e32 v13, v42, v40
	v_fmac_f16_e32 v34, v85, v2
	v_fmac_f16_e32 v36, v84, v3
	v_add_f16_e32 v39, v40, v42
	v_add_f16_e32 v40, v29, v31
	v_add_f16_e32 v42, v35, v33
	v_sub_f16_e32 v43, v29, v31
	v_sub_f16_e32 v31, v31, v38
	;; [unrolled: 1-line block ×3, first 2 shown]
	v_add_f16_e32 v68, v10, v11
	v_sub_f16_e32 v70, v10, v11
	v_sub_f16_e32 v71, v13, v12
	;; [unrolled: 1-line block ×3, first 2 shown]
	v_add_f16_e32 v73, v15, v28
	v_add_f16_e32 v74, v30, v67
	v_sub_f16_e32 v15, v15, v28
	v_sub_f16_e32 v28, v30, v67
	v_add_f16_e32 v30, v24, v26
	v_add_f16_e32 v67, v32, v41
	v_sub_f16_e32 v44, v35, v33
	v_sub_f16_e32 v33, v33, v39
	;; [unrolled: 1-line block ×3, first 2 shown]
	v_add_f16_e32 v69, v13, v12
	v_sub_f16_e32 v10, v9, v10
	v_sub_f16_e32 v12, v12, v14
	;; [unrolled: 1-line block ×4, first 2 shown]
	v_add_f16_e32 v32, v27, v25
	v_add_f16_e32 v41, v34, v36
	v_sub_f16_e32 v25, v25, v27
	v_sub_f16_e32 v27, v36, v34
	v_add_f16_e32 v34, v38, v40
	v_add_f16_e32 v36, v39, v42
	;; [unrolled: 1-line block ×3, first 2 shown]
	v_mul_f16_e32 v31, 0x3a52, v31
	v_mul_f16_e32 v38, 0x2b26, v29
	v_mul_f16_e32 v40, 0xb846, v70
	v_mul_f16_e32 v42, 0xb846, v71
	v_mul_f16_e32 v68, 0x3b00, v11
	v_add_f16_e32 v70, v30, v73
	v_add_f16_e32 v71, v67, v74
	v_sub_f16_e32 v13, v14, v13
	v_add_f16_e32 v14, v69, v14
	v_mul_f16_e32 v33, 0x3a52, v33
	v_mul_f16_e32 v39, 0x2b26, v35
	;; [unrolled: 1-line block ×3, first 2 shown]
	v_sub_f16_e32 v75, v30, v73
	v_sub_f16_e32 v76, v67, v74
	;; [unrolled: 1-line block ×6, first 2 shown]
	v_add_f16_e32 v77, v25, v24
	v_add_f16_e32 v78, v27, v26
	v_sub_f16_e32 v79, v25, v24
	v_sub_f16_e32 v80, v27, v26
	;; [unrolled: 1-line block ×4, first 2 shown]
	v_add_f16_e32 v81, v34, v8
	v_add_f16_e32 v37, v36, v37
	v_fmamk_f16 v29, v29, 0x2b26, v31
	v_fma_f16 v38, v43, 0x39e0, -v38
	v_fma_f16 v31, v43, 0xb9e0, -v31
	v_fmamk_f16 v43, v10, 0x3574, v40
	v_fma_f16 v40, v11, 0x3b00, -v40
	v_fma_f16 v68, v10, 0xb574, -v68
	v_add_f16_e32 v32, v32, v70
	v_add_f16_e32 v41, v41, v71
	v_sub_f16_e32 v25, v15, v25
	v_sub_f16_e32 v27, v28, v27
	v_fmamk_f16 v35, v35, 0x2b26, v33
	v_fma_f16 v39, v44, 0x39e0, -v39
	v_fma_f16 v33, v44, 0xb9e0, -v33
	v_fmamk_f16 v44, v13, 0x3574, v42
	v_fma_f16 v42, v12, 0x3b00, -v42
	v_fma_f16 v69, v13, 0xb574, -v69
	v_add_f16_e32 v70, v77, v15
	v_add_f16_e32 v28, v78, v28
	v_mul_f16_e32 v10, 0x3a52, v73
	v_mul_f16_e32 v11, 0x3a52, v74
	;; [unrolled: 1-line block ×8, first 2 shown]
	v_lshlrev_b32_e32 v77, 16, v37
	v_and_b32_e32 v78, 0xffff, v81
	v_fmac_f16_e32 v81, 0xbcab, v34
	v_fmac_f16_e32 v37, 0xbcab, v36
	;; [unrolled: 1-line block ×5, first 2 shown]
	v_add_f16_e32 v8, v23, v32
	v_add_f16_e32 v9, v72, v41
	v_fmac_f16_e32 v44, 0x370e, v14
	v_fmac_f16_e32 v42, 0x370e, v14
	;; [unrolled: 1-line block ×3, first 2 shown]
	v_fmamk_f16 v23, v30, 0x2b26, v10
	v_fmamk_f16 v34, v67, 0x2b26, v11
	v_fma_f16 v30, v75, 0x39e0, -v12
	v_fma_f16 v36, v76, 0x39e0, -v13
	;; [unrolled: 1-line block ×4, first 2 shown]
	v_fmamk_f16 v10, v25, 0x3574, v15
	v_fmamk_f16 v11, v27, 0x3574, v71
	v_fma_f16 v14, v24, 0x3b00, -v15
	v_fma_f16 v12, v26, 0x3b00, -v71
	;; [unrolled: 1-line block ×4, first 2 shown]
	v_add_f16_e32 v24, v29, v81
	v_add_f16_e32 v25, v35, v37
	;; [unrolled: 1-line block ×5, first 2 shown]
	v_fmamk_f16 v32, v32, 0xbcab, v8
	v_fmamk_f16 v33, v41, 0xbcab, v9
	v_add_f16_e32 v26, v38, v81
	v_fmac_f16_e32 v10, 0x370e, v70
	v_fmac_f16_e32 v11, 0x370e, v28
	;; [unrolled: 1-line block ×6, first 2 shown]
	v_add_f16_e32 v35, v44, v24
	v_sub_f16_e32 v37, v25, v43
	v_add_f16_e32 v38, v69, v29
	v_sub_f16_e32 v39, v31, v68
	;; [unrolled: 2-line block ×3, first 2 shown]
	v_sub_f16_e32 v69, v29, v69
	v_add_f16_e32 v68, v68, v31
	v_sub_f16_e32 v44, v24, v44
	v_add_f16_e32 v24, v23, v32
	v_add_f16_e32 v23, v30, v32
	;; [unrolled: 1-line block ×6, first 2 shown]
	v_sub_f16_e32 v41, v26, v42
	v_add_f16_e32 v42, v42, v26
	v_add_f16_e32 v43, v43, v25
	v_or_b32_e32 v71, v77, v78
	v_add_f16_e32 v28, v12, v23
	v_sub_f16_e32 v78, v30, v14
	v_sub_f16_e32 v25, v27, v13
	v_add_f16_e32 v77, v15, v31
	v_sub_f16_e32 v26, v24, v11
	v_pack_b32_f16 v32, v35, v37
	v_add_f16_e32 v79, v10, v29
	v_pack_b32_f16 v33, v38, v39
	v_pack_b32_f16 v34, v41, v70
	;; [unrolled: 1-line block ×5, first 2 shown]
	ds_store_2addr_b32 v60, v71, v32 offset1:17
	ds_store_2addr_b32 v60, v33, v34 offset0:34 offset1:51
	ds_store_2addr_b32 v60, v35, v36 offset0:68 offset1:85
	ds_store_b32 v60, v37 offset:408
	s_and_saveexec_b32 s1, s0
	s_cbranch_execz .LBB0_11
; %bb.10:
	v_add_f16_e32 v14, v14, v30
	v_mul_u32_u24_e32 v30, 0x77, v53
	v_sub_f16_e32 v10, v29, v10
	v_add_f16_e32 v11, v11, v24
	v_sub_f16_e32 v15, v31, v15
	v_add_f16_e32 v13, v13, v27
	v_sub_f16_e32 v12, v23, v12
	v_add_lshl_u32 v23, v30, v52, 2
	v_perm_b32 v8, v9, v8, 0x5040100
	v_pack_b32_f16 v9, v11, v10
	v_pack_b32_f16 v10, v13, v15
	;; [unrolled: 1-line block ×3, first 2 shown]
	v_perm_b32 v12, v78, v28, 0x5040100
	v_perm_b32 v13, v77, v25, 0x5040100
	;; [unrolled: 1-line block ×3, first 2 shown]
	ds_store_2addr_b32 v23, v8, v9 offset1:17
	ds_store_2addr_b32 v23, v10, v11 offset0:34 offset1:51
	ds_store_2addr_b32 v23, v12, v13 offset0:68 offset1:85
	ds_store_b32 v23, v14 offset:408
.LBB0_11:
	s_wait_alu 0xfffe
	s_or_b32 exec_lo, exec_lo, s1
	v_mad_co_u64_u32 v[23:24], null, v46, 40, s[2:3]
	global_wb scope:SCOPE_SE
	s_wait_dscnt 0x0
	s_barrier_signal -1
	s_barrier_wait -1
	global_inv scope:SCOPE_SE
	v_add_nc_u32_e32 v39, 0x400, v45
	v_add_nc_u32_e32 v40, 0x800, v45
	s_clause 0x2
	global_load_b128 v[12:15], v[23:24], off offset:408
	global_load_b128 v[8:11], v[23:24], off offset:424
	global_load_b64 v[23:24], v[23:24], off offset:440
	ds_load_2addr_b32 v[29:30], v45 offset0:119 offset1:238
	v_add_nc_u32_e32 v41, 0xc00, v45
	v_add_nc_u32_e32 v42, 0x1000, v45
	ds_load_b32 v27, v45
	ds_load_2addr_b32 v[31:32], v39 offset0:101 offset1:220
	ds_load_2addr_b32 v[33:34], v40 offset0:83 offset1:202
	;; [unrolled: 1-line block ×4, first 2 shown]
	v_add_nc_u32_e32 v43, 0x200, v45
	v_add_nc_u32_e32 v44, 0xa00, v45
	;; [unrolled: 1-line block ×4, first 2 shown]
	s_wait_dscnt 0x5
	v_lshrrev_b32_e32 v80, 16, v29
	v_lshrrev_b32_e32 v81, 16, v30
	s_wait_dscnt 0x4
	v_lshrrev_b32_e32 v82, 16, v27
	s_wait_dscnt 0x3
	;; [unrolled: 2-line block ×3, first 2 shown]
	v_lshrrev_b32_e32 v89, 16, v37
	v_lshrrev_b32_e32 v92, 16, v38
	;; [unrolled: 1-line block ×7, first 2 shown]
	s_wait_loadcnt 0x2
	v_lshrrev_b32_e32 v76, 16, v12
	v_lshrrev_b32_e32 v75, 16, v13
	s_wait_loadcnt 0x1
	v_lshrrev_b32_e32 v70, 16, v10
	s_wait_loadcnt 0x0
	v_lshrrev_b32_e32 v68, 16, v23
	v_lshrrev_b32_e32 v67, 16, v24
	v_mul_f16_e32 v93, v80, v76
	v_mul_f16_e32 v94, v29, v76
	v_lshrrev_b32_e32 v74, 16, v14
	v_lshrrev_b32_e32 v73, 16, v15
	v_lshrrev_b32_e32 v72, 16, v8
	v_lshrrev_b32_e32 v71, 16, v9
	v_lshrrev_b32_e32 v69, 16, v11
	v_mul_f16_e32 v95, v81, v75
	v_mul_f16_e32 v96, v30, v75
	;; [unrolled: 1-line block ×6, first 2 shown]
	v_fma_f16 v29, v29, v12, -v93
	v_fmac_f16_e32 v94, v80, v12
	v_mul_f16_e32 v97, v83, v74
	v_mul_f16_e32 v98, v31, v74
	;; [unrolled: 1-line block ×12, first 2 shown]
	v_fma_f16 v30, v30, v13, -v95
	v_fmac_f16_e32 v96, v81, v13
	v_fmac_f16_e32 v106, v87, v10
	v_fma_f16 v37, v37, v23, -v109
	v_fma_f16 v87, v38, v24, -v111
	v_fmac_f16_e32 v112, v92, v24
	v_add_f16_e32 v38, v29, v27
	v_add_f16_e32 v80, v94, v82
	v_fma_f16 v31, v31, v14, -v97
	v_fmac_f16_e32 v98, v83, v14
	v_fma_f16 v32, v32, v15, -v99
	v_fmac_f16_e32 v100, v84, v15
	v_fma_f16 v33, v33, v8, -v101
	v_fmac_f16_e32 v102, v85, v8
	v_fma_f16 v34, v34, v9, -v103
	v_fmac_f16_e32 v104, v86, v9
	v_fma_f16 v35, v35, v10, -v105
	v_fma_f16 v36, v36, v11, -v107
	v_fmac_f16_e32 v108, v88, v11
	v_fmac_f16_e32 v110, v89, v23
	v_add_f16_e32 v81, v29, v87
	v_sub_f16_e32 v29, v29, v87
	v_sub_f16_e32 v84, v94, v112
	v_add_f16_e32 v85, v30, v37
	v_sub_f16_e32 v88, v30, v37
	v_add_f16_e32 v30, v38, v30
	v_add_f16_e32 v38, v80, v96
	v_add_f16_e32 v83, v94, v112
	v_add_f16_e32 v86, v96, v110
	v_sub_f16_e32 v89, v96, v110
	v_add_f16_e32 v92, v31, v36
	v_sub_f16_e32 v94, v31, v36
	v_sub_f16_e32 v95, v98, v108
	;; [unrolled: 1-line block ×6, first 2 shown]
	v_mul_f16_e32 v80, 0xb853, v84
	v_mul_f16_e32 v96, 0xb853, v29
	;; [unrolled: 1-line block ×9, first 2 shown]
	v_add_f16_e32 v30, v30, v31
	v_add_f16_e32 v31, v38, v98
	;; [unrolled: 1-line block ×7, first 2 shown]
	v_mul_f16_e32 v84, 0xb482, v84
	v_mul_f16_e32 v119, 0xbb47, v89
	;; [unrolled: 1-line block ×12, first 2 shown]
	v_mul_f16_e64 v128, 0xbbeb, v94
	v_mul_f16_e64 v129, 0x3482, v95
	;; [unrolled: 1-line block ×7, first 2 shown]
	v_mul_f16_e32 v95, 0xba0c, v95
	v_mul_f16_e32 v94, 0xba0c, v94
	v_mul_f16_e64 v135, 0xba0c, v103
	v_mul_f16_e64 v136, 0xba0c, v101
	;; [unrolled: 1-line block ×8, first 2 shown]
	v_mul_f16_e32 v103, 0x3b47, v103
	v_mul_f16_e32 v101, 0x3b47, v101
	v_mul_f16_e64 v143, 0xb482, v111
	v_mul_f16_e64 v144, 0xb482, v109
	;; [unrolled: 1-line block ×8, first 2 shown]
	v_mul_f16_e32 v111, 0xbbeb, v111
	v_mul_f16_e32 v109, 0xbbeb, v109
	v_fma_f16 v38, v81, 0x3abb, -v80
	v_fmamk_f16 v98, v83, 0x3abb, v96
	v_fmac_f16_e32 v80, 0x3abb, v81
	v_fma_f16 v96, v83, 0x3abb, -v96
	v_fma_f16 v151, v81, 0x36a6, -v113
	v_fma_f16 v152, 0x36a6, v83, v114
	v_fmac_f16_e32 v113, 0x36a6, v81
	v_fma_f16 v153, v81, 0xb08e, -v115
	v_fmac_f16_e32 v115, 0xb08e, v81
	v_fma_f16 v155, v81, 0xb93d, -v117
	v_fma_f16 v158, 0xbbad, v83, v29
	v_fma_f16 v29, v83, 0xbbad, -v29
	v_add_f16_e32 v30, v30, v32
	v_add_f16_e32 v31, v31, v100
	v_fma_f16 v114, v83, 0x36a6, -v114
	v_fma_f16 v154, 0xb08e, v83, v116
	v_fma_f16 v116, v83, 0xb08e, -v116
	v_fma_f16 v156, 0xb93d, v83, v118
	v_fmac_f16_e32 v117, 0xb93d, v81
	v_fma_f16 v118, v83, 0xb93d, -v118
	v_fma_f16 v157, v81, 0xbbad, -v84
	v_fmac_f16_e32 v84, 0xbbad, v81
	v_fma_f16 v81, v85, 0x36a6, -v119
	v_fmamk_f16 v83, v86, 0x36a6, v120
	v_fmac_f16_e32 v119, 0x36a6, v85
	v_fma_f16 v120, v86, 0x36a6, -v120
	v_fma_f16 v159, v85, 0xb93d, -v121
	v_fma_f16 v160, 0xb93d, v86, v122
	v_fmac_f16_e32 v121, 0xb93d, v85
	v_fma_f16 v122, v86, 0xb93d, -v122
	v_fma_f16 v161, v85, 0xbbad, -v123
	v_fma_f16 v162, 0xbbad, v86, v124
	;; [unrolled: 4-line block ×6, first 2 shown]
	v_fmac_f16_e64 v129, 0xbbad, v92
	v_fma_f16 v130, v93, 0xbbad, -v130
	v_fma_f16 v169, v92, 0x36a6, -v131
	v_fma_f16 v170, 0x36a6, v93, v132
	v_fmac_f16_e64 v131, 0x36a6, v92
	v_fma_f16 v132, v93, 0x36a6, -v132
	v_fma_f16 v171, v92, 0x3abb, -v133
	v_fma_f16 v172, 0x3abb, v93, v134
	;; [unrolled: 4-line block ×3, first 2 shown]
	v_fmac_f16_e32 v95, 0xb93d, v92
	v_fma_f16 v92, v93, 0xb93d, -v94
	v_fma_f16 v93, v97, 0xb93d, -v135
	v_fma_f16 v94, 0xb93d, v99, v136
	v_fmac_f16_e64 v135, 0xb93d, v97
	v_fma_f16 v136, v99, 0xb93d, -v136
	v_fma_f16 v175, v97, 0xb08e, -v137
	v_fma_f16 v176, 0xb08e, v99, v138
	v_fmac_f16_e64 v137, 0xb08e, v97
	;; [unrolled: 4-line block ×4, first 2 shown]
	v_fma_f16 v142, v99, 0xbbad, -v142
	v_fma_f16 v181, v97, 0x36a6, -v103
	v_fma_f16 v182, 0x36a6, v99, v101
	v_fmac_f16_e32 v103, 0x36a6, v97
	v_fma_f16 v97, v99, 0x36a6, -v101
	v_fma_f16 v99, v105, 0xbbad, -v143
	v_fma_f16 v101, 0xbbad, v107, v144
	v_fmac_f16_e64 v143, 0xbbad, v105
	v_fma_f16 v144, v107, 0xbbad, -v144
	v_fma_f16 v183, v105, 0x3abb, -v145
	v_fma_f16 v184, 0x3abb, v107, v146
	v_fmac_f16_e64 v145, 0x3abb, v105
	;; [unrolled: 4-line block ×4, first 2 shown]
	v_fma_f16 v150, v107, 0x36a6, -v150
	v_fma_f16 v189, v105, 0xb08e, -v111
	v_fma_f16 v190, 0xb08e, v107, v109
	v_fmac_f16_e32 v111, 0xb08e, v105
	v_fma_f16 v105, v107, 0xb08e, -v109
	v_add_f16_e32 v32, v38, v27
	v_add_f16_e32 v38, v98, v82
	;; [unrolled: 1-line block ×4, first 2 shown]
	v_add_f16_e64 v98, v151, v27
	v_add_f16_e64 v100, v152, v82
	v_add_f16_e32 v107, v113, v27
	v_add_f16_e32 v115, v115, v27
	v_add_f16_e64 v151, v155, v27
	v_add_f16_e32 v29, v29, v82
	v_add_f16_e32 v30, v30, v33
	;; [unrolled: 1-line block ×4, first 2 shown]
	v_add_f16_e64 v113, v153, v27
	v_add_f16_e64 v114, v154, v82
	v_add_f16_e32 v116, v116, v82
	v_add_f16_e64 v152, v156, v82
	v_add_f16_e32 v117, v117, v27
	v_add_f16_e32 v118, v118, v82
	v_add_f16_e64 v153, v157, v27
	v_add_f16_e64 v154, v158, v82
	v_add_f16_e32 v27, v84, v27
	v_add_f16_e32 v32, v81, v32
	;; [unrolled: 1-line block ×5, first 2 shown]
	v_add_f16_e64 v82, v160, v100
	v_add_f16_e32 v83, v121, v107
	v_add_f16_e32 v100, v123, v115
	v_add_f16_e64 v107, v163, v151
	v_add_f16_e32 v29, v85, v29
	v_add_f16_e32 v30, v30, v34
	;; [unrolled: 1-line block ×3, first 2 shown]
	v_add_f16_e64 v81, v159, v98
	v_add_f16_e32 v27, v89, v27
	v_add_f16_e32 v32, v86, v32
	;; [unrolled: 1-line block ×3, first 2 shown]
	v_add_f16_e64 v38, v128, v80
	v_add_f16_e64 v86, v131, v100
	;; [unrolled: 1-line block ×3, first 2 shown]
	v_add_f16_e32 v29, v92, v29
	v_add_f16_e32 v30, v30, v35
	;; [unrolled: 1-line block ×3, first 2 shown]
	v_add_f16_e64 v80, v167, v81
	v_add_f16_e32 v32, v93, v32
	v_add_f16_e64 v35, v136, v38
	v_add_f16_e64 v92, v139, v86
	;; [unrolled: 1-line block ×3, first 2 shown]
	v_add_f16_e32 v29, v97, v29
	v_add_f16_e32 v36, v30, v36
	;; [unrolled: 1-line block ×4, first 2 shown]
	v_add_f16_e64 v96, v161, v113
	v_add_f16_e64 v98, v162, v114
	v_add_f16_e32 v102, v124, v116
	v_add_f16_e64 v109, v164, v152
	v_add_f16_e32 v113, v125, v117
	v_add_f16_e32 v114, v126, v118
	v_add_f16_e64 v115, v165, v153
	v_add_f16_e64 v116, v166, v154
	;; [unrolled: 1-line block ×6, first 2 shown]
	v_add_f16_e32 v92, v97, v110
	v_add_f16_e32 v93, v36, v37
	;; [unrolled: 1-line block ×3, first 2 shown]
	v_add_f16_e64 v81, v168, v82
	v_add_f16_e64 v82, v129, v83
	;; [unrolled: 1-line block ×11, first 2 shown]
	v_add_f16_e32 v27, v95, v27
	v_add_f16_e32 v92, v92, v112
	;; [unrolled: 1-line block ×4, first 2 shown]
	v_add_f16_e64 v34, v135, v34
	v_add_f16_e64 v81, v176, v81
	;; [unrolled: 1-line block ×12, first 2 shown]
	v_add_f16_e32 v102, v103, v27
	v_add_f16_e32 v87, v105, v29
	v_lshlrev_b32_e32 v29, 16, v92
	v_and_b32_e32 v92, 0xffff, v93
	v_add_f16_e32 v30, v99, v32
	v_add_f16_e32 v89, v101, v33
	v_add_f16_e64 v27, v143, v34
	v_add_f16_e64 v33, v183, v38
	v_add_f16_e64 v86, v184, v81
	v_add_f16_e64 v34, v185, v84
	v_add_f16_e64 v85, v186, v85
	v_add_f16_e64 v32, v145, v82
	v_add_f16_e64 v82, v148, v88
	v_add_f16_e64 v84, v188, v94
	v_add_f16_e64 v36, v189, v98
	v_add_f16_e64 v88, v190, v100
	v_add_f16_e64 v81, v146, v83
	v_add_f16_e64 v38, v149, v95
	v_add_f16_e64 v83, v150, v96
	v_add_f16_e32 v37, v111, v102
	v_or_b32_e32 v29, v29, v92
	v_pack_b32_f16 v94, v30, v89
	v_pack_b32_f16 v95, v33, v86
	;; [unrolled: 1-line block ×10, first 2 shown]
	ds_store_b32 v45, v29
	ds_store_b32 v45, v94 offset:476
	ds_store_2addr_b32 v43, v95, v93 offset0:110 offset1:229
	ds_store_2addr_b32 v91, v96, v97 offset0:92 offset1:211
	;; [unrolled: 1-line block ×4, first 2 shown]
	ds_store_b32 v45, v101 offset:4760
	global_wb scope:SCOPE_SE
	s_wait_dscnt 0x0
	s_barrier_signal -1
	s_barrier_wait -1
	global_inv scope:SCOPE_SE
	s_and_saveexec_b32 s1, vcc_lo
	s_cbranch_execz .LBB0_13
; %bb.12:
	global_load_b32 v91, v45, s[8:9] offset:5236
	s_add_nc_u64 s[2:3], s[8:9], 0x1474
	s_clause 0xf
	global_load_b32 v107, v45, s[2:3] offset:308
	global_load_b32 v108, v45, s[2:3] offset:616
	;; [unrolled: 1-line block ×16, first 2 shown]
	ds_load_b32 v92, v45
	s_wait_dscnt 0x0
	v_lshrrev_b32_e32 v93, 16, v92
	s_wait_loadcnt 0xf
	v_lshrrev_b32_e32 v123, 16, v107
	s_wait_loadcnt 0xe
	;; [unrolled: 2-line block ×12, first 2 shown]
	v_lshrrev_b32_e32 v134, 16, v118
	v_lshrrev_b32_e32 v94, 16, v91
	s_wait_loadcnt 0x3
	v_lshrrev_b32_e32 v135, 16, v119
	s_wait_loadcnt 0x2
	;; [unrolled: 2-line block ×4, first 2 shown]
	v_lshrrev_b32_e32 v138, 16, v122
	v_mul_f16_e32 v95, v93, v94
	v_mul_f16_e32 v94, v92, v94
	s_delay_alu instid0(VALU_DEP_2) | instskip(NEXT) | instid1(VALU_DEP_2)
	v_fma_f16 v92, v92, v91, -v95
	v_fmac_f16_e32 v94, v93, v91
	s_delay_alu instid0(VALU_DEP_1)
	v_pack_b32_f16 v91, v92, v94
	ds_store_b32 v45, v91
	ds_load_2addr_b32 v[91:92], v45 offset0:77 offset1:154
	ds_load_2addr_b32 v[93:94], v43 offset0:103 offset1:180
	;; [unrolled: 1-line block ×8, first 2 shown]
	s_wait_dscnt 0x7
	v_lshrrev_b32_e32 v139, 16, v91
	v_lshrrev_b32_e32 v141, 16, v92
	s_wait_dscnt 0x6
	v_lshrrev_b32_e32 v143, 16, v93
	v_lshrrev_b32_e32 v145, 16, v94
	;; [unrolled: 3-line block ×5, first 2 shown]
	v_mul_f16_e64 v140, v91, v123
	v_mul_f16_e64 v142, v92, v124
	s_wait_dscnt 0x2
	v_lshrrev_b32_e32 v159, 16, v101
	v_lshrrev_b32_e32 v161, 16, v102
	s_wait_dscnt 0x1
	v_lshrrev_b32_e32 v163, 16, v103
	v_lshrrev_b32_e32 v165, 16, v104
	;; [unrolled: 3-line block ×3, first 2 shown]
	v_mul_f16_e64 v123, v139, v123
	v_mul_f16_e64 v124, v141, v124
	;; [unrolled: 1-line block ×24, first 2 shown]
	v_fmac_f16_e64 v140, v139, v107
	v_fmac_f16_e64 v142, v141, v108
	v_mul_f16_e64 v133, v159, v133
	v_mul_f16_e64 v134, v161, v134
	;; [unrolled: 1-line block ×6, first 2 shown]
	v_fma_f16 v91, v91, v107, -v123
	v_fma_f16 v92, v92, v108, -v124
	v_fmac_f16_e64 v144, v143, v109
	v_fmac_f16_e64 v146, v145, v110
	v_fma_f16 v93, v93, v109, -v125
	v_fma_f16 v94, v94, v110, -v126
	v_fmac_f16_e64 v148, v147, v111
	v_fmac_f16_e64 v150, v149, v112
	;; [unrolled: 4-line block ×5, first 2 shown]
	v_fmac_f16_e64 v164, v163, v119
	v_fmac_f16_e64 v166, v165, v120
	;; [unrolled: 1-line block ×4, first 2 shown]
	v_fma_f16 v101, v101, v117, -v133
	v_fma_f16 v102, v102, v118, -v134
	;; [unrolled: 1-line block ×6, first 2 shown]
	v_pack_b32_f16 v91, v91, v140
	v_pack_b32_f16 v92, v92, v142
	;; [unrolled: 1-line block ×16, first 2 shown]
	ds_store_2addr_b32 v45, v91, v92 offset0:77 offset1:154
	ds_store_2addr_b32 v43, v93, v94 offset0:103 offset1:180
	;; [unrolled: 1-line block ×8, first 2 shown]
.LBB0_13:
	s_wait_alu 0xfffe
	s_or_b32 exec_lo, exec_lo, s1
	global_wb scope:SCOPE_SE
	s_wait_dscnt 0x0
	s_barrier_signal -1
	s_barrier_wait -1
	global_inv scope:SCOPE_SE
	s_and_saveexec_b32 s1, vcc_lo
	s_cbranch_execz .LBB0_15
; %bb.14:
	v_add_nc_u32_e32 v17, 0x400, v45
	v_add_nc_u32_e32 v18, 0x600, v45
	;; [unrolled: 1-line block ×3, first 2 shown]
	ds_load_2addr_b32 v[29:30], v45 offset1:77
	ds_load_2addr_b32 v[33:34], v45 offset0:154 offset1:231
	ds_load_2addr_b32 v[35:36], v17 offset0:52 offset1:129
	v_add_nc_u32_e32 v17, 0xc00, v45
	ds_load_2addr_b32 v[37:38], v18 offset0:78 offset1:155
	ds_load_2addr_b32 v[31:32], v25 offset0:104 offset1:181
	v_add_nc_u32_e32 v18, 0x1000, v45
	ds_load_2addr_b32 v[27:28], v17 offset0:2 offset1:79
	ds_load_2addr_b32 v[25:26], v17 offset0:156 offset1:233
	;; [unrolled: 1-line block ×3, first 2 shown]
	ds_load_b32 v48, v45 offset:4928
	s_wait_dscnt 0x8
	v_lshrrev_b32_e32 v89, 16, v30
	s_wait_dscnt 0x7
	v_lshrrev_b32_e32 v86, 16, v33
	v_lshrrev_b32_e32 v85, 16, v34
	s_wait_dscnt 0x6
	v_lshrrev_b32_e32 v84, 16, v35
	;; [unrolled: 3-line block ×8, first 2 shown]
.LBB0_15:
	s_wait_alu 0xfffe
	s_or_b32 exec_lo, exec_lo, s1
	s_delay_alu instid0(VALU_DEP_1)
	v_sub_f16_e32 v107, v89, v49
	v_add_f16_e32 v110, v49, v89
	v_add_f16_e32 v90, v48, v30
	v_sub_f16_e32 v92, v30, v48
	v_lshrrev_b32_e32 v91, 16, v29
	v_mul_f16_e32 v42, 0xb836, v107
	v_mul_f16_e64 v137, 0xb8d2, v110
	v_mul_f16_e32 v95, 0xbacd, v110
	v_mul_f16_e32 v122, 0xbbf7, v107
	;; [unrolled: 1-line block ×3, first 2 shown]
	v_fmamk_f16 v94, v90, 0xbacd, v42
	v_fma_f16 v93, 0xba62, v92, v137
	v_sub_f16_e32 v111, v86, v50
	v_mul_f16_e32 v125, 0x2de8, v110
	v_mul_f16_e32 v127, 0xbbb2, v107
	v_add_f16_e32 v97, v94, v29
	v_add_f16_e32 v96, v93, v91
	v_fmamk_f16 v93, v92, 0x3836, v95
	v_mul_f16_e32 v94, 0xb1e1, v107
	v_fma_f16 v39, v90, 0x2de8, -v122
	v_fmamk_f16 v100, v92, 0x31e1, v98
	v_add_f16_e32 v114, v50, v86
	v_add_f16_e32 v99, v93, v91
	v_fmamk_f16 v93, v90, 0xbbdd, v94
	v_mul_f16_e64 v128, 0xb1e1, v111
	v_mul_f16_e64 v130, 0xb461, v110
	v_fmamk_f16 v40, v92, 0xbbf7, v125
	v_mul_f16_e64 v134, 0xba62, v107
	v_add_f16_e32 v101, v93, v29
	v_add_f16_e32 v93, v18, v33
	v_fma_f16 v41, v90, 0xb461, -v127
	v_add_f16_e32 v39, v39, v29
	v_add_f16_e32 v102, v100, v91
	v_fma_f16 v100, v90, 0xbbdd, -v94
	v_sub_f16_e32 v94, v33, v18
	v_mul_f16_e64 v131, 0xbbdd, v114
	v_fma_f16 v103, v93, 0xbbdd, -v128
	v_mul_f16_e64 v135, 0x3836, v111
	v_add_f16_e32 v40, v40, v91
	v_add_f16_e32 v41, v41, v29
	v_fma_f16 v43, 0xbbb2, v92, v130
	v_fma_f16 v44, v90, 0xb8d2, -v134
	v_add_f16_e32 v104, v100, v29
	v_fma_f16 v100, 0xb1e1, v94, v131
	v_add_f16_e32 v39, v103, v39
	v_mul_f16_e64 v139, 0xbacd, v114
	v_fma_f16 v103, v93, 0xbacd, -v135
	v_mul_f16_e64 v143, 0x3bb2, v111
	v_mul_f16_e64 v146, 0xb461, v114
	v_add_f16_e32 v43, v43, v91
	v_add_f16_e32 v44, v44, v29
	v_fma_f16 v42, v90, 0xbacd, -v42
	v_add_f16_e32 v40, v100, v40
	v_fma_f16 v100, 0x3836, v94, v139
	v_add_f16_e32 v41, v103, v41
	v_fma_f16 v103, v93, 0xb461, -v143
	v_mul_f16_e32 v105, 0x3b29, v111
	v_fma_f16 v106, 0x3bb2, v94, v146
	v_add_f16_e32 v42, v42, v29
	v_add_f16_e32 v43, v100, v43
	v_mul_f16_e32 v100, 0x3722, v114
	v_add_f16_e32 v44, v103, v44
	v_fmamk_f16 v103, v93, 0x3722, v105
	v_add_f16_e32 v96, v106, v96
	v_mul_f16_e32 v106, 0x35c8, v111
	v_fma_f16 v105, v93, 0x3722, -v105
	v_fmac_f16_e32 v95, 0xb836, v92
	v_fmac_f16_e32 v98, 0xb1e1, v92
	v_fmamk_f16 v108, v94, 0xbb29, v100
	v_add_f16_e32 v103, v103, v97
	v_fmamk_f16 v97, v93, 0x3b76, v106
	v_add_f16_e32 v42, v105, v42
	v_mul_f16_e32 v105, 0x3b76, v114
	v_sub_f16_e32 v115, v85, v51
	v_add_f16_e32 v95, v95, v91
	v_add_f16_e32 v98, v98, v91
	v_fmac_f16_e32 v100, 0x3b29, v94
	v_add_f16_e32 v99, v108, v99
	v_add_f16_e32 v101, v97, v101
	;; [unrolled: 1-line block ×3, first 2 shown]
	v_fmamk_f16 v108, v94, 0xb5c8, v105
	v_add_f16_e32 v97, v17, v34
	v_mul_f16_e64 v136, 0x3bb2, v115
	v_fmac_f16_e32 v105, 0x35c8, v94
	v_mul_f16_e64 v144, 0x3964, v115
	v_add_f16_e32 v95, v100, v95
	v_sub_f16_e32 v100, v34, v17
	v_mul_f16_e64 v138, 0xb461, v118
	v_add_f16_e32 v102, v108, v102
	v_fma_f16 v108, v97, 0xb461, -v136
	v_add_f16_e32 v98, v105, v98
	v_fma_f16 v105, v97, 0x39e9, -v144
	v_mul_f16_e64 v147, 0x39e9, v118
	v_mul_f16_e64 v151, 0xb5c8, v115
	v_fma_f16 v106, v93, 0x3b76, -v106
	v_fma_f16 v109, 0x3bb2, v100, v138
	v_add_f16_e32 v39, v108, v39
	v_mul_f16_e64 v154, 0x3b76, v118
	v_add_f16_e32 v41, v105, v41
	v_fma_f16 v105, 0x3964, v100, v147
	v_fma_f16 v108, v97, 0x3b76, -v151
	v_mul_f16_e32 v113, 0x2de8, v118
	v_add_f16_e32 v104, v106, v104
	v_add_f16_e32 v40, v109, v40
	v_mul_f16_e32 v106, 0xbbf7, v115
	v_fma_f16 v109, 0xb5c8, v100, v154
	v_add_f16_e32 v43, v105, v43
	v_add_f16_e32 v44, v108, v44
	v_fmamk_f16 v105, v100, 0x3bf7, v113
	v_mul_f16_e32 v108, 0xb836, v115
	v_fmamk_f16 v112, v97, 0x2de8, v106
	v_add_f16_e32 v96, v109, v96
	v_mul_f16_e32 v109, 0xbacd, v118
	v_fma_f16 v106, v97, 0x2de8, -v106
	v_add_f16_e32 v99, v105, v99
	v_fmamk_f16 v105, v97, 0xbacd, v108
	v_sub_f16_e32 v119, v84, v79
	v_add_f16_e32 v123, v79, v84
	v_add_f16_e32 v103, v112, v103
	v_fmamk_f16 v112, v100, 0x3836, v109
	v_add_f16_e32 v42, v106, v42
	v_add_f16_e32 v101, v105, v101
	;; [unrolled: 1-line block ×3, first 2 shown]
	v_mul_f16_e64 v142, 0x35c8, v119
	v_fma_f16 v108, v97, 0xbacd, -v108
	v_fmac_f16_e32 v109, 0xb836, v100
	v_sub_f16_e32 v106, v35, v26
	v_mul_f16_e64 v145, 0x3b76, v123
	v_mul_f16_e64 v149, 0xbb29, v119
	v_add_f16_e32 v102, v112, v102
	v_fma_f16 v112, v105, 0x3b76, -v142
	v_add_f16_e32 v104, v108, v104
	v_add_f16_e32 v98, v109, v98
	v_fma_f16 v108, 0x35c8, v106, v145
	v_mul_f16_e64 v153, 0x3722, v123
	v_fma_f16 v109, v105, 0x3722, -v149
	v_mul_f16_e64 v155, 0xb836, v119
	v_fmac_f16_e32 v113, 0xbbf7, v100
	v_add_f16_e32 v39, v112, v39
	v_add_f16_e32 v40, v108, v40
	v_mul_f16_e64 v158, 0xbacd, v123
	v_fma_f16 v108, 0xbb29, v106, v153
	v_add_f16_e32 v41, v109, v41
	v_fma_f16 v109, v105, 0xbacd, -v155
	v_mul_f16_e32 v112, 0x3a62, v119
	v_add_f16_e32 v95, v113, v95
	v_fma_f16 v113, 0xb836, v106, v158
	v_add_f16_e32 v43, v108, v43
	v_mul_f16_e32 v108, 0xb8d2, v123
	v_add_f16_e32 v44, v109, v44
	v_fmamk_f16 v109, v105, 0xb8d2, v112
	v_fma_f16 v112, v105, 0xb8d2, -v112
	v_add_f16_e32 v96, v113, v96
	v_mul_f16_e32 v113, 0x3964, v119
	v_fmamk_f16 v116, v106, 0xba62, v108
	v_fmac_f16_e32 v108, 0x3a62, v106
	v_add_f16_e32 v42, v112, v42
	v_mul_f16_e32 v112, 0x39e9, v123
	v_sub_f16_e32 v124, v88, v77
	v_add_f16_e32 v103, v109, v103
	v_fmamk_f16 v109, v105, 0x39e9, v113
	v_add_f16_e32 v99, v116, v99
	v_add_f16_e32 v95, v108, v95
	v_add_f16_e64 v129, v77, v88
	v_fmamk_f16 v116, v106, 0xb964, v112
	v_add_f16_e32 v108, v25, v36
	v_mul_f16_e64 v150, 0xbb29, v124
	v_fmac_f16_e32 v112, 0x3964, v106
	v_mul_f16_e64 v157, 0xb1e1, v124
	v_add_f16_e32 v101, v109, v101
	v_sub_f16_e32 v109, v36, v25
	v_mul_f16_e64 v152, 0x3722, v129
	v_add_f16_e32 v102, v116, v102
	v_fma_f16 v116, v108, 0x3722, -v150
	v_add_f16_e32 v98, v112, v98
	v_fma_f16 v112, v108, 0xbbdd, -v157
	v_mul_f16_e64 v160, 0xbbdd, v129
	v_mul_f16_e64 v162, 0x3bf7, v124
	v_fma_f16 v113, v105, 0x39e9, -v113
	v_fma_f16 v117, 0xbb29, v109, v152
	v_add_f16_e32 v39, v116, v39
	v_mul_f16_e64 v165, 0x2de8, v129
	v_add_f16_e32 v41, v112, v41
	v_fma_f16 v112, 0xb1e1, v109, v160
	v_fma_f16 v116, v108, 0x2de8, -v162
	v_mul_f16_e64 v121, 0x3b76, v129
	v_add_f16_e32 v104, v113, v104
	v_add_f16_e32 v40, v117, v40
	v_mul_f16_e32 v113, 0xb5c8, v124
	v_fma_f16 v117, 0x3bf7, v109, v165
	v_add_f16_e32 v43, v112, v43
	v_add_f16_e32 v44, v116, v44
	v_fmamk_f16 v112, v109, 0x35c8, v121
	v_mul_f16_e32 v116, 0xba62, v124
	v_fmamk_f16 v120, v108, 0x3b76, v113
	v_add_f16_e32 v96, v117, v96
	v_mul_f16_e64 v117, 0xb8d2, v129
	v_fma_f16 v113, v108, 0x3b76, -v113
	v_add_f16_e32 v99, v112, v99
	v_fmamk_f16 v112, v108, 0xb8d2, v116
	v_sub_f16_e32 v126, v87, v78
	v_add_f16_e64 v133, v78, v87
	v_add_f16_e32 v103, v120, v103
	v_fmamk_f16 v120, v109, 0x3a62, v117
	v_add_f16_e32 v42, v113, v42
	v_add_f16_e32 v101, v112, v101
	;; [unrolled: 1-line block ×3, first 2 shown]
	v_mul_f16_e64 v156, 0xb836, v126
	v_fma_f16 v116, v108, 0xb8d2, -v116
	v_fmac_f16_e32 v117, 0xba62, v109
	v_sub_f16_e32 v113, v37, v28
	v_mul_f16_e64 v159, 0xbacd, v133
	v_mul_f16_e64 v163, 0x3bf7, v126
	v_fmac_f16_e32 v121, 0xb5c8, v109
	v_add_f16_e32 v102, v120, v102
	v_fma_f16 v120, v112, 0xbacd, -v156
	v_add_f16_e32 v104, v116, v104
	v_add_f16_e32 v98, v117, v98
	v_fma_f16 v116, 0xb836, v113, v159
	v_mul_f16_e64 v166, 0x2de8, v133
	v_fma_f16 v117, v112, 0x2de8, -v163
	v_mul_f16_e64 v169, 0xb964, v126
	v_mul_f16_e64 v172, 0x39e9, v133
	v_add_f16_e32 v95, v121, v95
	v_add_f16_e32 v39, v120, v39
	;; [unrolled: 1-line block ×3, first 2 shown]
	v_fma_f16 v116, 0x3bf7, v113, v166
	v_add_f16_e32 v41, v117, v41
	v_fma_f16 v117, v112, 0x39e9, -v169
	v_mul_f16_e32 v120, 0xb1e1, v126
	v_fma_f16 v121, 0xb964, v113, v172
	v_add_f16_e32 v43, v116, v43
	v_mul_f16_e64 v116, 0xbbdd, v133
	v_add_f16_e32 v44, v117, v44
	v_fmamk_f16 v117, v112, 0xbbdd, v120
	v_add_f16_e32 v96, v121, v96
	v_mul_f16_e32 v121, 0x3b29, v126
	v_fma_f16 v132, 0x31e1, v113, v116
	v_fma_f16 v120, v112, 0xbbdd, -v120
	v_add_f16_e32 v103, v117, v103
	v_add_f16_e64 v141, v80, v83
	v_fmamk_f16 v117, v112, 0x3722, v121
	v_fmac_f16_e32 v116, 0xb1e1, v113
	v_add_f16_e64 v99, v132, v99
	v_add_f16_e32 v42, v120, v42
	v_mul_f16_e64 v120, 0x3722, v133
	v_add_f16_e32 v101, v117, v101
	v_sub_f16_e64 v132, v83, v80
	v_sub_f16_e32 v117, v38, v27
	v_mul_f16_e64 v164, 0xb8d2, v141
	v_add_f16_e32 v95, v116, v95
	v_fma_f16 v140, 0xbb29, v113, v120
	v_add_f16_e32 v116, v27, v38
	v_mul_f16_e64 v161, 0x3a62, v132
	v_fma_f16 v148, 0x3a62, v117, v164
	v_mul_f16_e64 v168, 0xb5c8, v132
	v_add_f16_e64 v102, v140, v102
	v_fma_f16 v121, v112, 0x3722, -v121
	v_fmac_f16_e32 v120, 0x3b29, v113
	v_fma_f16 v140, v116, 0xb8d2, -v161
	v_add_f16_e64 v177, v148, v40
	v_fma_f16 v40, v116, 0x3b76, -v168
	v_mul_f16_e64 v171, 0x3b76, v141
	v_mul_f16_e64 v174, 0xb1e1, v132
	;; [unrolled: 1-line block ×3, first 2 shown]
	v_add_f16_e32 v104, v121, v104
	v_add_f16_e32 v98, v120, v98
	v_add_f16_e64 v39, v140, v39
	v_mul_f16_e64 v120, 0x3964, v132
	v_add_f16_e32 v41, v40, v41
	v_fma_f16 v40, 0xb5c8, v117, v171
	v_fma_f16 v121, v116, 0xbbdd, -v174
	v_fma_f16 v140, 0xb1e1, v117, v175
	v_mul_f16_e64 v167, 0x39e9, v141
	v_fma_f16 v148, 0x39e9, v116, v120
	v_add_f16_e32 v43, v40, v43
	v_add_f16_e32 v44, v121, v44
	v_add_f16_e64 v96, v140, v96
	v_fma_f16 v40, 0xb964, v117, v167
	v_mul_f16_e64 v121, 0xbbb2, v132
	v_fma_f16 v120, v116, 0x39e9, -v120
	v_fmac_f16_e64 v167, 0x3964, v117
	v_sub_f16_e64 v140, v82, v81
	v_add_f16_e64 v103, v148, v103
	v_mul_f16_e64 v176, 0xb461, v141
	v_add_f16_e64 v179, v40, v99
	v_fmamk_f16 v40, v116, 0xb461, v121
	v_add_f16_e64 v180, v120, v42
	v_add_f16_e64 v181, v167, v95
	;; [unrolled: 1-line block ×3, first 2 shown]
	v_add_f16_e32 v120, v32, v31
	v_mul_f16_e64 v167, 0x3964, v140
	v_fma_f16 v99, 0x3bb2, v117, v176
	v_add_f16_e64 v182, v40, v101
	v_fma_f16 v40, v116, 0xb461, -v121
	v_sub_f16_e32 v121, v31, v32
	v_mul_f16_e64 v170, 0x39e9, v148
	v_fmac_f16_e64 v176, 0xbbb2, v117
	v_fma_f16 v42, v120, 0x39e9, -v167
	v_mul_f16_e64 v173, 0xba62, v140
	v_add_f16_e64 v184, v40, v104
	v_fma_f16 v95, 0x3964, v121, v170
	v_add_f16_e64 v185, v176, v98
	v_add_f16_e32 v40, v42, v39
	v_fma_f16 v39, v120, 0xb8d2, -v173
	v_mul_f16_e64 v176, 0xb8d2, v148
	v_add_f16_e64 v101, v95, v177
	v_mul_f16_e64 v177, 0x3b29, v140
	v_mul_f16_e64 v95, 0xbbb2, v140
	v_add_f16_e32 v39, v39, v41
	v_fma_f16 v41, 0xba62, v121, v176
	v_add_f16_e64 v183, v99, v102
	v_mul_f16_e64 v178, 0x3722, v148
	v_fma_f16 v42, v120, 0x3722, -v177
	v_mul_f16_e64 v102, 0xb461, v148
	v_add_f16_e32 v99, v41, v43
	v_fmamk_f16 v41, v120, 0xb461, v95
	v_fma_f16 v98, 0x3b29, v121, v178
	v_add_f16_e32 v42, v42, v44
	v_fmamk_f16 v43, v121, 0x3bb2, v102
	v_fma_f16 v44, v120, 0xb461, -v95
	v_add_f16_e32 v95, v41, v103
	v_mul_f16_e64 v103, 0x3bf7, v140
	v_mul_f16_e64 v186, 0x2de8, v148
	v_add_f16_e32 v98, v98, v96
	v_add_f16_e64 v96, v43, v179
	v_add_f16_e64 v41, v44, v180
	v_fmac_f16_e32 v102, 0xbbb2, v121
	v_fmamk_f16 v43, v120, 0x2de8, v103
	v_fma_f16 v44, 0xbbf7, v121, v186
	v_fma_f16 v103, v120, 0x2de8, -v103
	v_fmac_f16_e64 v186, 0x3bf7, v121
	v_add_f16_e64 v102, v102, v181
	v_add_f16_e64 v43, v43, v182
	;; [unrolled: 1-line block ×5, first 2 shown]
	global_wb scope:SCOPE_SE
	s_barrier_signal -1
	s_barrier_wait -1
	global_inv scope:SCOPE_SE
	s_and_saveexec_b32 s1, vcc_lo
	s_cbranch_execz .LBB0_17
; %bb.16:
	v_mul_f16_e64 v184, 0xba62, v92
	v_mul_f16_e64 v190, 0x3bb2, v94
	;; [unrolled: 1-line block ×5, first 2 shown]
	v_sub_f16_e64 v137, v137, v184
	v_sub_f16_e64 v146, v146, v190
	v_mul_f16_e64 v189, 0xb461, v93
	v_mul_f16_e64 v208, 0x3bf7, v109
	v_add_f16_e64 v134, v183, v134
	v_add_f16_e64 v137, v137, v91
	v_mul_f16_e64 v182, 0xbbb2, v92
	v_mul_f16_e64 v195, 0x3b76, v97
	;; [unrolled: 1-line block ×3, first 2 shown]
	v_add_f16_e64 v134, v134, v29
	v_add_f16_e64 v137, v146, v137
	v_sub_f16_e64 v146, v154, v196
	v_add_f16_e64 v143, v189, v143
	v_mul_f16_e64 v188, 0x3836, v94
	v_mul_f16_e64 v201, 0xbacd, v105
	;; [unrolled: 1-line block ×3, first 2 shown]
	v_add_f16_e64 v137, v146, v137
	v_sub_f16_e64 v146, v158, v202
	v_add_f16_e64 v134, v143, v134
	v_add_f16_e64 v143, v195, v151
	v_sub_f16_e64 v130, v130, v182
	v_mul_f16_e64 v194, 0x3964, v100
	v_add_f16_e64 v137, v146, v137
	v_sub_f16_e64 v146, v165, v208
	v_mul_f16_e64 v207, 0x2de8, v108
	v_mul_f16_e64 v151, 0x3b29, v121
	v_add_f16_e64 v134, v143, v134
	v_add_f16_e64 v143, v201, v155
	;; [unrolled: 1-line block ×3, first 2 shown]
	v_sub_f16_e64 v146, v172, v213
	v_add_f16_e64 v130, v130, v91
	v_sub_f16_e64 v139, v139, v188
	v_mul_f16_e64 v181, 0xb461, v90
	v_mul_f16_e64 v200, 0xbb29, v106
	v_add_f16_e64 v137, v146, v137
	v_sub_f16_e64 v146, v175, v196
	v_mul_f16_e64 v212, 0x39e9, v112
	v_add_f16_e64 v134, v143, v134
	v_add_f16_e64 v143, v207, v162
	;; [unrolled: 1-line block ×4, first 2 shown]
	v_sub_f16_e64 v146, v178, v151
	v_sub_f16_e64 v147, v147, v194
	v_mul_f16_e64 v187, 0xbacd, v93
	v_mul_f16_e64 v206, 0xb1e1, v109
	;; [unrolled: 1-line block ×3, first 2 shown]
	v_add_f16_e64 v134, v143, v134
	v_add_f16_e64 v143, v212, v169
	v_add_f16_e64 v130, v146, v137
	v_add_f16_e64 v127, v181, v127
	v_add_f16_e64 v137, v147, v139
	v_sub_f16_e64 v139, v153, v200
	v_mul_f16_e64 v179, 0x2de8, v90
	v_mul_f16_e64 v180, 0xbbf7, v92
	v_mul_f16_e64 v193, 0x39e9, v97
	v_mul_f16_e64 v211, 0x3bf7, v113
	v_mul_f16_e64 v189, 0x3722, v120
	v_add_f16_e64 v134, v143, v134
	v_add_f16_e64 v143, v154, v174
	v_add_f16_e32 v127, v127, v29
	v_add_f16_e64 v135, v187, v135
	v_add_f16_e64 v137, v139, v137
	v_sub_f16_e64 v139, v160, v206
	v_mul_f16_e64 v185, 0xbbdd, v93
	v_mul_f16_e64 v186, 0xb1e1, v94
	;; [unrolled: 1-line block ×4, first 2 shown]
	v_add_f16_e64 v134, v143, v134
	v_add_f16_e64 v143, v189, v177
	;; [unrolled: 1-line block ×5, first 2 shown]
	v_sub_f16_e64 v139, v166, v211
	v_sub_f16_e64 v125, v125, v180
	v_add_f16_e64 v122, v179, v122
	v_mul_f16_e64 v191, 0xb461, v97
	v_mul_f16_e64 v192, 0x3bb2, v100
	;; [unrolled: 1-line block ×4, first 2 shown]
	v_add_f16_e64 v127, v143, v134
	v_add_f16_e64 v134, v144, v135
	;; [unrolled: 1-line block ×4, first 2 shown]
	v_sub_f16_e64 v139, v171, v216
	v_add_f16_e32 v125, v125, v91
	v_sub_f16_e64 v131, v131, v186
	v_add_f16_e32 v122, v122, v29
	v_add_f16_e64 v128, v185, v128
	v_mul_f16_e64 v197, 0x3b76, v105
	v_mul_f16_e64 v198, 0x35c8, v106
	;; [unrolled: 1-line block ×3, first 2 shown]
	v_add_f16_e64 v134, v135, v134
	v_add_f16_e64 v135, v205, v157
	;; [unrolled: 1-line block ×3, first 2 shown]
	v_sub_f16_e64 v139, v176, v165
	v_add_f16_e64 v131, v131, v125
	v_sub_f16_e64 v138, v138, v192
	v_add_f16_e64 v122, v128, v122
	v_add_f16_e64 v128, v191, v136
	v_mul_f16_e64 v203, 0x3722, v108
	v_mul_f16_e64 v204, 0xbb29, v109
	;; [unrolled: 1-line block ×3, first 2 shown]
	v_add_f16_e64 v134, v135, v134
	v_add_f16_e64 v135, v184, v163
	;; [unrolled: 1-line block ×4, first 2 shown]
	v_sub_f16_e64 v137, v145, v198
	v_add_f16_e64 v122, v128, v122
	v_add_f16_e64 v128, v197, v142
	v_mul_f16_e64 v209, 0xbacd, v112
	v_mul_f16_e64 v210, 0xb836, v113
	;; [unrolled: 1-line block ×3, first 2 shown]
	v_add_f16_e64 v134, v135, v134
	v_add_f16_e64 v135, v215, v168
	;; [unrolled: 1-line block ×3, first 2 shown]
	v_sub_f16_e64 v137, v152, v204
	v_add_f16_e64 v122, v128, v122
	v_add_f16_e64 v128, v203, v150
	v_mul_f16_e64 v190, 0xb8d2, v116
	v_add_f16_e64 v134, v135, v134
	v_add_f16_e64 v135, v183, v173
	v_add_f16_e64 v131, v137, v131
	v_sub_f16_e64 v136, v159, v210
	v_mul_f16_e64 v137, 0x3722, v110
	v_add_f16_e64 v122, v128, v122
	v_add_f16_e64 v128, v209, v156
	v_mul_f16_e64 v214, 0x3a62, v117
	v_add_f16_e64 v134, v135, v134
	v_add_f16_e64 v131, v136, v131
	v_fma_f16 v135, 0x3b29, v92, v137
	v_mul_f16_e64 v136, 0xb8d2, v114
	v_add_f16_e64 v122, v128, v122
	v_add_f16_e64 v128, v190, v161
	v_sub_f16_e64 v138, v164, v214
	v_add_f16_e64 v135, v135, v91
	v_fma_f16 v139, 0x3a62, v94, v136
	v_mul_f16_e64 v142, 0xbbdd, v118
	v_add_f16_e64 v122, v128, v122
	v_mul_f16_e64 v128, 0xbb29, v107
	v_mul_f16_e64 v217, 0x39e9, v120
	v_mul_f16_e64 v158, 0x3964, v121
	v_add_f16_e64 v131, v138, v131
	v_add_f16_e64 v135, v139, v135
	v_fma_f16 v138, 0xb1e1, v100, v142
	v_mul_f16_e64 v139, 0xb461, v123
	v_fma_f16 v146, 0x3722, v90, v128
	v_mul_f16_e64 v147, 0xba62, v111
	v_sub_f16_e64 v143, v170, v158
	v_add_f16_e64 v135, v138, v135
	v_fma_f16 v138, 0xbbb2, v106, v139
	v_mul_f16_e64 v144, 0x39e9, v129
	v_add_f16_e64 v145, v217, v167
	v_add_f16_e64 v146, v146, v29
	v_fma_f16 v150, 0xb8d2, v93, v147
	v_mul_f16_e64 v151, 0x31e1, v115
	v_add_f16_e64 v131, v143, v131
	;; [unrolled: 4-line block ×4, first 2 shown]
	v_fma_f16 v138, 0x35c8, v113, v143
	v_mul_f16_e64 v149, 0x2de8, v141
	v_mul_f16_e64 v152, 0x39e9, v110
	v_add_f16_e64 v145, v146, v145
	v_fma_f16 v146, 0xb461, v105, v150
	v_mul_f16_e64 v153, 0x3964, v124
	v_add_f16_e64 v135, v138, v135
	v_fma_f16 v138, 0x3bf7, v117, v149
	v_fma_f16 v155, 0x3964, v92, v152
	v_mul_f16_e64 v156, 0x2de8, v114
	v_add_f16_e64 v145, v146, v145
	v_fma_f16 v146, 0x39e9, v108, v153
	v_mul_f16_e64 v157, 0xb5c8, v126
	v_add_f16_e64 v135, v138, v135
	v_mul_f16_e64 v138, 0xbacd, v148
	v_add_f16_e64 v155, v155, v91
	v_fma_f16 v158, 0x3bf7, v94, v156
	v_mul_f16_e64 v159, 0xb8d2, v118
	v_add_f16_e64 v145, v146, v145
	v_fma_f16 v146, 0x3b76, v112, v157
	v_mul_f16_e64 v160, 0xbbf7, v132
	v_fma_f16 v154, 0x3836, v121, v138
	v_add_f16_e64 v155, v158, v155
	v_fma_f16 v158, 0x3a62, v100, v159
	v_mul_f16_e64 v161, 0xbbdd, v123
	v_add_f16_e64 v145, v146, v145
	v_fma_f16 v146, 0x2de8, v116, v160
	v_mul_f16_e64 v162, 0xb964, v107
	v_add_f16_e64 v135, v154, v135
	v_add_f16_e64 v154, v158, v155
	v_fma_f16 v155, 0x31e1, v106, v161
	v_mul_f16_e64 v158, 0xbacd, v129
	v_add_f16_e64 v145, v146, v145
	v_mul_f16_e64 v146, 0xb836, v140
	v_fma_f16 v165, 0x39e9, v90, v162
	v_mul_f16_e64 v166, 0xbbf7, v111
	v_add_f16_e64 v154, v155, v154
	v_fma_f16 v155, 0xb836, v109, v158
	v_mul_f16_e64 v163, 0xb461, v133
	v_fma_f16 v164, 0xbacd, v120, v146
	v_add_f16_e64 v165, v165, v29
	v_fma_f16 v168, 0x2de8, v93, v166
	v_mul_f16_e64 v169, 0xba62, v115
	v_add_f16_e64 v154, v155, v154
	v_fma_f16 v155, 0xbbb2, v113, v163
	v_mul_f16_e64 v167, 0x3722, v141
	v_add_f16_e64 v145, v164, v145
	v_add_f16_e64 v164, v168, v165
	v_fma_f16 v165, 0xb8d2, v97, v169
	v_mul_f16_e64 v168, 0xb1e1, v119
	v_mul_f16_e32 v110, 0x3b76, v110
	v_add_f16_e64 v154, v155, v154
	v_fma_f16 v155, 0xbb29, v117, v167
	v_add_f16_e64 v164, v165, v164
	v_fma_f16 v165, 0xbbdd, v105, v168
	v_mul_f16_e64 v170, 0x3836, v124
	v_fma_f16 v172, 0x35c8, v92, v110
	v_mul_f16_e32 v114, 0x39e9, v114
	v_add_f16_e64 v154, v155, v154
	v_mul_f16_e64 v155, 0x3b76, v148
	v_add_f16_e64 v164, v165, v164
	v_fma_f16 v165, 0xbacd, v108, v170
	v_mul_f16_e64 v173, 0x3bb2, v126
	v_add_f16_e64 v172, v172, v91
	v_fma_f16 v174, 0x3964, v94, v114
	v_mul_f16_e32 v118, 0x3722, v118
	v_fma_f16 v171, 0xb5c8, v121, v155
	v_add_f16_e64 v164, v165, v164
	v_fma_f16 v165, 0xb461, v112, v173
	v_mul_f16_e64 v175, 0x3b29, v132
	v_add_f16_e64 v172, v174, v172
	v_fma_f16 v174, 0x3b29, v100, v118
	v_mul_f16_e32 v123, 0x2de8, v123
	v_add_f16_e64 v164, v165, v164
	v_fma_f16 v165, 0x3722, v116, v175
	v_add_f16_e64 v154, v171, v154
	v_add_f16_e64 v171, v174, v172
	v_fma_f16 v172, 0x3bf7, v106, v123
	v_mul_f16_e64 v129, 0xb461, v129
	v_mul_f16_e32 v107, 0xb5c8, v107
	v_add_f16_e64 v164, v165, v164
	v_mul_f16_e64 v165, 0x35c8, v140
	v_add_f16_e64 v171, v172, v171
	v_fma_f16 v172, 0x3bb2, v109, v129
	v_mul_f16_e64 v133, 0xb8d2, v133
	v_fma_f16 v176, 0x3b76, v90, v107
	v_mul_f16_e32 v111, 0xb964, v111
	v_fma_f16 v174, 0x3b76, v120, v165
	v_add_f16_e64 v171, v172, v171
	v_fma_f16 v172, 0x3a62, v113, v133
	v_mul_f16_e64 v141, 0xbacd, v141
	v_add_f16_e64 v176, v176, v29
	v_fma_f16 v177, 0x39e9, v93, v111
	v_mul_f16_e32 v115, 0xbb29, v115
	v_fmac_f16_e64 v137, 0xbb29, v92
	v_add_f16_e64 v164, v174, v164
	v_add_f16_e64 v171, v172, v171
	v_fma_f16 v172, 0x3836, v117, v141
	v_add_f16_e64 v174, v177, v176
	v_fma_f16 v176, 0x3722, v97, v115
	v_mul_f16_e32 v119, 0xbbf7, v119
	v_add_f16_e64 v137, v137, v91
	v_fmac_f16_e64 v136, 0xba62, v94
	v_fma_f16 v128, v90, 0x3722, -v128
	v_add_f16_e64 v171, v172, v171
	v_add_f16_e64 v172, v176, v174
	v_fma_f16 v174, 0x2de8, v105, v119
	v_mul_f16_e32 v124, 0xbbb2, v124
	v_add_f16_e64 v136, v136, v137
	v_add_f16_e64 v128, v128, v29
	v_fma_f16 v137, v93, 0xb8d2, -v147
	v_add_f16_e64 v172, v174, v172
	v_fma_f16 v174, 0xb461, v108, v124
	v_mul_f16_e32 v126, 0xba62, v126
	v_fmac_f16_e64 v142, 0x31e1, v100
	v_add_f16_e64 v128, v137, v128
	v_fma_f16 v137, v97, 0xbbdd, -v151
	v_add_f16_e64 v147, v174, v172
	v_fma_f16 v172, 0xb8d2, v112, v126
	v_add_f16_e64 v136, v142, v136
	v_fmac_f16_e64 v139, 0x3bb2, v106
	v_mul_f16_e64 v132, 0xb836, v132
	v_add_f16_e64 v128, v137, v128
	v_fma_f16 v137, v105, 0xb461, -v150
	v_add_f16_e64 v142, v172, v147
	v_add_f16_e64 v136, v139, v136
	v_fmac_f16_e64 v144, 0x3964, v109
	v_fma_f16 v139, 0xbacd, v116, v132
	v_mul_f16_e64 v140, 0xb1e1, v140
	v_add_f16_e64 v128, v137, v128
	v_fma_f16 v137, v108, 0x39e9, -v153
	v_add_f16_e64 v136, v144, v136
	v_fmac_f16_e64 v143, 0xb5c8, v113
	v_add_f16_e64 v139, v139, v142
	v_fma_f16 v142, 0xbbdd, v120, v140
	v_add_f16_e64 v128, v137, v128
	v_fma_f16 v137, v112, 0x3b76, -v157
	v_fmac_f16_e64 v152, 0xb964, v92
	v_add_f16_e64 v136, v143, v136
	v_fmac_f16_e64 v149, 0xbbf7, v117
	v_add_f16_e64 v139, v142, v139
	v_add_f16_e64 v128, v137, v128
	v_fma_f16 v137, v116, 0x2de8, -v160
	v_add_f16_e64 v142, v152, v91
	v_fmac_f16_e64 v156, 0xbbf7, v94
	v_fma_f16 v144, v90, 0x39e9, -v162
	v_add_f16_e64 v136, v149, v136
	v_fmac_f16_e64 v138, 0xb836, v121
	v_add_f16_e64 v128, v137, v128
	v_fma_f16 v137, v120, 0xbacd, -v146
	v_add_f16_e64 v142, v156, v142
	v_fmac_f16_e64 v159, 0xba62, v100
	v_add_f16_e64 v144, v144, v29
	v_fma_f16 v146, v93, 0x2de8, -v166
	v_add_f16_e32 v89, v89, v91
	v_add_f16_e32 v30, v30, v29
	v_add_f16_e64 v136, v138, v136
	v_add_f16_e64 v128, v137, v128
	;; [unrolled: 1-line block ×4, first 2 shown]
	v_fma_f16 v142, v97, 0xb8d2, -v169
	v_add_f16_e32 v86, v86, v89
	v_add_f16_e32 v30, v33, v30
	v_fma_f16 v33, v105, 0xbbdd, -v168
	v_fmac_f16_e32 v110, 0xb5c8, v92
	v_add_f16_e64 v138, v142, v138
	v_add_f16_e32 v85, v85, v86
	v_add_f16_e32 v30, v34, v30
	v_fma_f16 v34, v108, 0xbacd, -v170
	v_fmac_f16_e32 v114, 0xb964, v94
	v_add_f16_e64 v33, v33, v138
	v_add_f16_e32 v84, v84, v85
	v_add_f16_e32 v30, v35, v30
	v_fmac_f16_e32 v118, 0xbb29, v100
	v_fmac_f16_e32 v123, 0xbbf7, v106
	v_add_f16_e32 v33, v34, v33
	v_fma_f16 v34, v112, 0xb461, -v173
	v_add_f16_e32 v35, v88, v84
	v_add_f16_e32 v30, v36, v30
	v_fmac_f16_e64 v161, 0xb1e1, v106
	v_fmac_f16_e64 v158, 0x3836, v109
	v_add_f16_e32 v33, v34, v33
	v_add_f16_e32 v34, v87, v35
	;; [unrolled: 1-line block ×3, first 2 shown]
	v_fma_f16 v35, v116, 0x3722, -v175
	v_add_f16_e32 v37, v110, v91
	v_add_f16_e64 v137, v161, v137
	v_add_f16_e32 v34, v83, v34
	v_add_f16_e32 v30, v38, v30
	;; [unrolled: 1-line block ×3, first 2 shown]
	v_fma_f16 v35, v120, 0x3b76, -v165
	v_fmac_f16_e64 v129, 0xbbb2, v109
	v_add_f16_e32 v34, v82, v34
	v_add_f16_e32 v30, v31, v30
	v_mul_f16_e64 v148, 0xbbdd, v148
	v_add_f16_e32 v31, v35, v33
	v_fma_f16 v33, v90, 0x3b76, -v107
	v_add_f16_e32 v34, v81, v34
	v_add_f16_e32 v30, v32, v30
	;; [unrolled: 1-line block ×3, first 2 shown]
	v_add_f16_e64 v89, v158, v137
	v_add_f16_e32 v29, v33, v29
	v_add_f16_e32 v33, v80, v34
	;; [unrolled: 1-line block ×3, first 2 shown]
	v_fma_f16 v30, v93, 0x39e9, -v111
	v_add_f16_e32 v32, v118, v32
	v_fmac_f16_e64 v163, 0x3bb2, v113
	v_add_f16_e32 v33, v78, v33
	v_add_f16_e32 v27, v28, v27
	;; [unrolled: 1-line block ×3, first 2 shown]
	v_fma_f16 v29, v97, 0x3722, -v115
	v_add_f16_e32 v30, v123, v32
	v_add_f16_e32 v32, v77, v33
	;; [unrolled: 1-line block ×3, first 2 shown]
	v_fmac_f16_e64 v133, 0xba62, v113
	v_add_f16_e32 v27, v29, v28
	v_fma_f16 v28, v105, 0x2de8, -v119
	v_add_f16_e32 v29, v79, v32
	v_add_f16_e32 v25, v26, v25
	v_add_f16_e64 v26, v129, v30
	v_fma_f16 v176, 0x31e1, v121, v148
	v_add_f16_e32 v27, v28, v27
	v_add_f16_e32 v28, v51, v29
	;; [unrolled: 1-line block ×3, first 2 shown]
	v_fma_f16 v25, v108, 0xb461, -v124
	v_add_f16_e64 v86, v163, v89
	v_fmac_f16_e64 v167, 0x3b29, v117
	v_add_f16_e32 v28, v50, v28
	v_add_f16_e32 v17, v18, v17
	v_add_f16_e32 v18, v25, v27
	v_fma_f16 v25, v112, 0xb8d2, -v126
	v_add_f16_e64 v26, v133, v26
	v_add_f16_e32 v27, v49, v28
	v_add_f16_e32 v17, v48, v17
	v_fmac_f16_e64 v141, 0xb836, v117
	v_add_f16_e32 v18, v25, v18
	v_fma_f16 v25, v116, 0xbacd, -v132
	v_lshlrev_b32_e32 v27, 16, v27
	v_and_b32_e32 v17, 0xffff, v17
	v_and_b32_e32 v28, 0xffff, v47
	v_add_f16_e64 v143, v176, v171
	v_add_f16_e64 v36, v167, v86
	v_fmac_f16_e64 v155, 0x35c8, v121
	v_add_f16_e64 v26, v141, v26
	v_fmac_f16_e64 v148, 0xb1e1, v121
	v_add_f16_e32 v18, v25, v18
	v_fma_f16 v25, v120, 0xbbdd, -v140
	v_or_b32_e32 v17, v27, v17
	v_lshlrev_b32_e32 v27, 2, v28
	v_pack_b32_f16 v28, v164, v154
	v_pack_b32_f16 v29, v139, v143
	;; [unrolled: 1-line block ×6, first 2 shown]
	v_add_f16_e64 v36, v155, v36
	v_add_f16_e64 v26, v148, v26
	v_add_f16_e32 v18, v25, v18
	ds_store_b32 v27, v17
	ds_store_2addr_b32 v27, v29, v28 offset0:1 offset1:2
	ds_store_2addr_b32 v27, v32, v30 offset0:3 offset1:4
	;; [unrolled: 1-line block ×3, first 2 shown]
	v_perm_b32 v17, v104, v43, 0x5040100
	v_perm_b32 v25, v96, v95, 0x5040100
	;; [unrolled: 1-line block ×6, first 2 shown]
	v_pack_b32_f16 v33, v128, v136
	v_perm_b32 v34, v101, v40, 0x5040100
	v_pack_b32_f16 v18, v18, v26
	v_pack_b32_f16 v26, v31, v36
	ds_store_2addr_b32 v27, v25, v17 offset0:7 offset1:8
	ds_store_2addr_b32 v27, v29, v28 offset0:9 offset1:10
	;; [unrolled: 1-line block ×5, first 2 shown]
.LBB0_17:
	s_wait_alu 0xfffe
	s_or_b32 exec_lo, exec_lo, s1
	v_add_nc_u32_e32 v25, 0x500, v45
	v_add_nc_u32_e32 v26, 0xb00, v45
	global_wb scope:SCOPE_SE
	s_wait_dscnt 0x0
	s_barrier_signal -1
	s_barrier_wait -1
	global_inv scope:SCOPE_SE
	ds_load_2addr_b32 v[17:18], v45 offset1:187
	ds_load_2addr_b32 v[27:28], v25 offset0:54 offset1:241
	ds_load_2addr_b32 v[25:26], v26 offset0:44 offset1:231
	ds_load_b32 v29, v45 offset:4488
	s_and_saveexec_b32 s1, s0
	s_cbranch_execz .LBB0_19
; %bb.18:
	v_add_nc_u32_e32 v30, 0x400, v45
	v_add_nc_u32_e32 v31, 0xa00, v45
	v_add_nc_u32_e32 v32, 0x1000, v45
	ds_load_b32 v95, v45 offset:476
	ds_load_2addr_b32 v[43:44], v30 offset0:50 offset1:237
	ds_load_2addr_b32 v[41:42], v31 offset0:40 offset1:227
	;; [unrolled: 1-line block ×3, first 2 shown]
	s_wait_dscnt 0x3
	v_lshrrev_b32_e32 v96, 16, v95
	s_wait_dscnt 0x2
	v_lshrrev_b32_e32 v104, 16, v43
	v_lshrrev_b32_e32 v103, 16, v44
	s_wait_dscnt 0x1
	v_lshrrev_b32_e32 v102, 16, v41
	;; [unrolled: 3-line block ×3, first 2 shown]
	v_lshrrev_b32_e32 v101, 16, v40
.LBB0_19:
	s_wait_alu 0xfffe
	s_or_b32 exec_lo, exec_lo, s1
	s_wait_dscnt 0x3
	v_lshrrev_b32_e32 v30, 16, v18
	s_wait_dscnt 0x2
	v_lshrrev_b32_e32 v31, 16, v27
	v_lshrrev_b32_e32 v32, 16, v28
	v_mul_f16_e32 v33, v66, v18
	s_wait_dscnt 0x1
	v_lshrrev_b32_e32 v34, 16, v25
	v_mul_f16_e32 v35, v66, v30
	v_lshrrev_b32_e32 v36, 16, v26
	s_wait_dscnt 0x0
	v_lshrrev_b32_e32 v37, 16, v29
	v_fma_f16 v30, v4, v30, -v33
	v_mul_f16_e32 v33, v65, v31
	v_fmac_f16_e32 v35, v4, v18
	v_mul_f16_e32 v4, v65, v27
	v_mul_f16_e32 v18, v64, v32
	;; [unrolled: 1-line block ×4, first 2 shown]
	v_fmac_f16_e32 v33, v5, v27
	v_fma_f16 v4, v5, v31, -v4
	v_fmac_f16_e32 v18, v6, v28
	v_fma_f16 v5, v6, v32, -v38
	v_mul_f16_e32 v6, v63, v37
	v_mul_f16_e32 v27, v63, v29
	;; [unrolled: 1-line block ×4, first 2 shown]
	v_fmac_f16_e32 v47, v7, v25
	v_mul_f16_e32 v25, v62, v25
	v_fmac_f16_e32 v6, v22, v29
	v_fma_f16 v22, v22, v37, -v27
	v_fmac_f16_e32 v28, v21, v26
	v_fma_f16 v21, v21, v36, -v31
	v_fma_f16 v7, v7, v34, -v25
	v_add_f16_e32 v25, v35, v6
	v_add_f16_e32 v26, v30, v22
	;; [unrolled: 1-line block ×4, first 2 shown]
	v_sub_f16_e32 v22, v30, v22
	v_sub_f16_e32 v4, v4, v21
	v_add_f16_e32 v21, v18, v47
	v_add_f16_e32 v30, v5, v7
	v_sub_f16_e32 v5, v7, v5
	v_add_f16_e32 v7, v27, v25
	v_add_f16_e32 v31, v29, v26
	v_sub_f16_e32 v28, v33, v28
	v_sub_f16_e32 v33, v29, v26
	;; [unrolled: 1-line block ×4, first 2 shown]
	v_add_f16_e32 v30, v30, v31
	v_lshrrev_b32_e32 v31, 16, v17
	v_add_f16_e32 v7, v21, v7
	v_sub_f16_e32 v18, v47, v18
	v_sub_f16_e32 v6, v35, v6
	;; [unrolled: 1-line block ×3, first 2 shown]
	v_add_f16_e32 v31, v30, v31
	v_add_f16_e32 v17, v7, v17
	v_sub_f16_e32 v25, v25, v21
	v_sub_f16_e32 v27, v21, v27
	v_add_f16_e32 v21, v18, v28
	v_add_f16_e32 v34, v5, v4
	v_sub_f16_e32 v35, v18, v28
	v_sub_f16_e32 v36, v5, v4
	v_lshlrev_b32_e32 v37, 16, v31
	v_and_b32_e32 v38, 0xffff, v17
	v_sub_f16_e32 v28, v28, v6
	v_sub_f16_e32 v4, v4, v22
	v_sub_f16_e32 v18, v6, v18
	v_sub_f16_e32 v5, v22, v5
	v_add_f16_e32 v6, v21, v6
	v_add_f16_e32 v21, v34, v22
	v_or_b32_e32 v22, v37, v38
	v_mul_f16_e32 v25, 0x3a52, v25
	v_mul_f16_e32 v26, 0x3a52, v26
	;; [unrolled: 1-line block ×8, first 2 shown]
	v_fmac_f16_e32 v17, 0xbcab, v7
	v_fmac_f16_e32 v31, 0xbcab, v30
	v_fmamk_f16 v7, v27, 0x2b26, v25
	v_fmamk_f16 v27, v29, 0x2b26, v26
	v_fma_f16 v29, v32, 0x39e0, -v34
	v_fma_f16 v30, v33, 0x39e0, -v37
	;; [unrolled: 1-line block ×4, first 2 shown]
	v_fmamk_f16 v32, v18, 0xb574, v35
	v_fmamk_f16 v33, v5, 0xb574, v36
	v_fma_f16 v28, v28, 0xbb00, -v35
	v_fma_f16 v4, v4, 0xbb00, -v36
	;; [unrolled: 1-line block ×4, first 2 shown]
	v_add_f16_e32 v7, v7, v17
	v_add_f16_e32 v27, v27, v31
	v_fmac_f16_e32 v32, 0xb70e, v6
	v_fmac_f16_e32 v33, 0xb70e, v21
	v_add_f16_e32 v29, v29, v17
	v_add_f16_e32 v30, v30, v31
	;; [unrolled: 1-line block ×4, first 2 shown]
	v_fmac_f16_e32 v28, 0xb70e, v6
	v_fmac_f16_e32 v5, 0xb70e, v21
	;; [unrolled: 1-line block ×4, first 2 shown]
	v_add_f16_e32 v6, v33, v7
	v_sub_f16_e32 v21, v27, v32
	v_add_f16_e32 v26, v5, v17
	v_sub_f16_e32 v31, v25, v18
	v_sub_f16_e32 v34, v29, v4
	v_add_f16_e32 v35, v28, v30
	v_add_f16_e32 v4, v4, v29
	v_sub_f16_e32 v28, v30, v28
	v_sub_f16_e32 v5, v17, v5
	v_add_f16_e32 v17, v18, v25
	v_sub_f16_e32 v7, v7, v33
	v_add_f16_e32 v18, v32, v27
	v_pack_b32_f16 v6, v6, v21
	v_pack_b32_f16 v21, v26, v31
	;; [unrolled: 1-line block ×6, first 2 shown]
	global_wb scope:SCOPE_SE
	s_barrier_signal -1
	s_barrier_wait -1
	global_inv scope:SCOPE_SE
	ds_store_2addr_b32 v60, v22, v6 offset1:17
	ds_store_2addr_b32 v60, v21, v25 offset0:34 offset1:51
	ds_store_2addr_b32 v60, v4, v5 offset0:68 offset1:85
	ds_store_b32 v60, v7 offset:408
	s_and_saveexec_b32 s1, s0
	s_cbranch_execz .LBB0_21
; %bb.20:
	v_mul_f16_e32 v4, v58, v104
	v_mul_f16_e32 v7, v56, v103
	v_mul_f16_e32 v17, v57, v99
	v_mul_f16_e32 v18, v59, v101
	v_mul_f16_e32 v25, v59, v40
	v_mul_f16_e32 v28, v58, v43
	v_mul_f16_e32 v29, v57, v39
	v_mul_f16_e32 v30, v56, v44
	v_mul_f16_e32 v5, v55, v98
	v_mul_f16_e32 v6, v54, v102
	v_fmac_f16_e32 v7, v1, v44
	v_fmac_f16_e32 v17, v19, v39
	;; [unrolled: 1-line block ×4, first 2 shown]
	v_fma_f16 v20, v20, v101, -v25
	v_fma_f16 v0, v0, v104, -v28
	v_mul_f16_e32 v28, v54, v41
	v_mul_f16_e32 v31, v55, v42
	v_fma_f16 v19, v19, v99, -v29
	v_fma_f16 v1, v1, v103, -v30
	v_fmac_f16_e32 v5, v3, v42
	v_fmac_f16_e32 v6, v2, v41
	v_add_f16_e32 v29, v20, v0
	v_fma_f16 v2, v2, v102, -v28
	v_fma_f16 v3, v3, v98, -v31
	v_add_f16_e32 v28, v19, v1
	v_sub_f16_e32 v22, v7, v17
	v_sub_f16_e32 v26, v4, v18
	v_add_f16_e32 v4, v18, v4
	v_add_f16_e32 v31, v2, v3
	v_add_f16_e32 v32, v28, v29
	v_add_f16_e32 v7, v17, v7
	v_sub_f16_e32 v21, v5, v6
	v_add_f16_e32 v5, v6, v5
	v_sub_f16_e32 v33, v29, v31
	v_add_f16_e32 v32, v31, v32
	v_sub_f16_e32 v17, v31, v28
	v_add_f16_e32 v31, v7, v4
	v_sub_f16_e32 v34, v4, v5
	v_sub_f16_e32 v2, v3, v2
	;; [unrolled: 1-line block ×4, first 2 shown]
	v_add_f16_e32 v31, v5, v31
	v_sub_f16_e32 v27, v21, v22
	v_sub_f16_e32 v25, v26, v21
	v_add_f16_e32 v21, v21, v22
	v_mul_f16_e32 v3, 0x3a52, v34
	v_sub_f16_e32 v5, v5, v7
	v_add_f16_e32 v19, v95, v31
	v_sub_f16_e32 v20, v2, v1
	v_sub_f16_e32 v22, v22, v26
	v_mul_f16_e32 v18, 0x3a52, v33
	v_sub_f16_e32 v35, v0, v2
	v_add_f16_e32 v2, v2, v1
	v_sub_f16_e32 v28, v28, v29
	v_sub_f16_e32 v1, v1, v0
	v_mul_f16_e32 v27, 0x3846, v27
	v_add_f16_e32 v6, v96, v32
	v_mul_f16_e32 v33, 0x2b26, v17
	v_fmamk_f16 v34, v5, 0x2b26, v3
	v_fmamk_f16 v31, v31, 0xbcab, v19
	v_mul_f16_e32 v20, 0x3846, v20
	v_mul_f16_e32 v37, 0xbb00, v22
	v_fmamk_f16 v17, v17, 0x2b26, v18
	v_mul_f16_e32 v5, 0x2b26, v5
	v_sub_f16_e32 v4, v7, v4
	v_fma_f16 v7, v28, 0xb9e0, -v18
	v_mul_f16_e32 v18, 0xbb00, v1
	v_fmamk_f16 v30, v25, 0xb574, v27
	v_add_f16_e32 v21, v21, v26
	v_fmamk_f16 v32, v32, 0xbcab, v6
	v_add_f16_e32 v26, v34, v31
	;; [unrolled: 2-line block ×3, first 2 shown]
	v_fma_f16 v2, v25, 0x3574, -v37
	v_fma_f16 v25, v28, 0x39e0, -v33
	;; [unrolled: 1-line block ×7, first 2 shown]
	v_fmac_f16_e32 v30, 0xb70e, v21
	v_add_f16_e32 v17, v17, v32
	v_fmac_f16_e32 v34, 0xb70e, v0
	v_fmac_f16_e32 v2, 0xb70e, v21
	v_add_f16_e32 v7, v7, v32
	v_add_f16_e32 v5, v25, v32
	v_fmac_f16_e32 v22, 0xb70e, v21
	v_add_f16_e32 v3, v3, v31
	v_fmac_f16_e32 v18, 0xb70e, v0
	v_fmac_f16_e32 v1, 0xb70e, v0
	v_add_f16_e32 v0, v4, v31
	v_add_f16_e32 v36, v30, v17
	v_add_f16_e32 v20, v2, v7
	v_sub_f16_e32 v25, v5, v22
	v_add_f16_e32 v5, v22, v5
	v_sub_f16_e32 v2, v7, v2
	v_mul_u32_u24_e32 v7, 0x77, v53
	v_sub_f16_e32 v17, v17, v30
	v_add_f16_e32 v22, v34, v26
	v_sub_f16_e32 v21, v3, v18
	v_add_f16_e32 v27, v1, v0
	v_add_f16_e32 v3, v18, v3
	v_sub_f16_e32 v0, v0, v1
	v_sub_f16_e32 v4, v26, v34
	v_add_lshl_u32 v1, v7, v52, 2
	v_pack_b32_f16 v6, v19, v6
	v_pack_b32_f16 v7, v22, v17
	;; [unrolled: 1-line block ×7, first 2 shown]
	ds_store_2addr_b32 v1, v6, v7 offset1:17
	ds_store_2addr_b32 v1, v2, v0 offset0:34 offset1:51
	ds_store_2addr_b32 v1, v3, v5 offset0:68 offset1:85
	ds_store_b32 v1, v4 offset:408
.LBB0_21:
	s_wait_alu 0xfffe
	s_or_b32 exec_lo, exec_lo, s1
	global_wb scope:SCOPE_SE
	s_wait_dscnt 0x0
	s_barrier_signal -1
	s_barrier_wait -1
	global_inv scope:SCOPE_SE
	v_add_nc_u32_e32 v4, 0x400, v45
	ds_load_2addr_b32 v[5:6], v45 offset0:119 offset1:238
	v_add_nc_u32_e32 v3, 0x800, v45
	v_add_nc_u32_e32 v1, 0xc00, v45
	;; [unrolled: 1-line block ×3, first 2 shown]
	ds_load_2addr_b32 v[17:18], v4 offset0:101 offset1:220
	ds_load_2addr_b32 v[19:20], v3 offset0:83 offset1:202
	;; [unrolled: 1-line block ×4, first 2 shown]
	ds_load_b32 v2, v45
	s_wait_dscnt 0x5
	v_lshrrev_b32_e32 v7, 16, v5
	v_lshrrev_b32_e32 v27, 16, v6
	v_mul_f16_e32 v28, v76, v5
	v_mul_f16_e32 v29, v75, v6
	s_wait_dscnt 0x4
	v_lshrrev_b32_e32 v30, 16, v17
	v_lshrrev_b32_e32 v31, 16, v18
	v_mul_f16_e32 v38, v76, v7
	v_fma_f16 v7, v12, v7, -v28
	v_mul_f16_e32 v28, v75, v27
	v_fma_f16 v27, v13, v27, -v29
	v_mul_f16_e32 v29, v74, v30
	v_fmac_f16_e32 v38, v12, v5
	v_mul_f16_e32 v5, v73, v31
	v_fmac_f16_e32 v28, v13, v6
	v_mul_f16_e32 v6, v73, v18
	s_wait_dscnt 0x0
	v_lshrrev_b32_e32 v12, 16, v2
	v_mul_f16_e32 v39, v74, v17
	v_fmac_f16_e32 v29, v14, v17
	v_fmac_f16_e32 v5, v15, v18
	v_fma_f16 v6, v15, v31, -v6
	v_add_f16_e32 v15, v7, v12
	v_add_f16_e32 v17, v38, v2
	v_lshrrev_b32_e32 v32, 16, v19
	v_fma_f16 v13, v14, v30, -v39
	v_lshrrev_b32_e32 v33, 16, v20
	v_add_f16_e32 v15, v15, v27
	v_add_f16_e32 v17, v17, v28
	v_mul_f16_e32 v14, v72, v32
	v_mul_f16_e32 v18, v72, v19
	v_lshrrev_b32_e32 v34, 16, v21
	v_add_f16_e32 v15, v15, v13
	v_add_f16_e32 v17, v17, v29
	v_fmac_f16_e32 v14, v8, v19
	v_mul_f16_e32 v19, v71, v33
	v_mul_f16_e32 v30, v71, v20
	v_fma_f16 v8, v8, v32, -v18
	v_add_f16_e32 v15, v15, v6
	v_add_f16_e32 v17, v17, v5
	v_lshrrev_b32_e32 v35, 16, v22
	v_fmac_f16_e32 v19, v9, v20
	v_fma_f16 v9, v9, v33, -v30
	v_mul_f16_e32 v18, v70, v34
	v_mul_f16_e32 v20, v70, v21
	v_add_f16_e32 v15, v15, v8
	v_add_f16_e32 v17, v17, v14
	v_lshrrev_b32_e32 v36, 16, v25
	v_mul_f16_e32 v30, v69, v35
	v_fmac_f16_e32 v18, v10, v21
	v_fma_f16 v10, v10, v34, -v20
	v_mul_f16_e32 v20, v69, v22
	v_add_f16_e32 v15, v15, v9
	v_add_f16_e32 v17, v17, v19
	v_lshrrev_b32_e32 v37, 16, v26
	v_fmac_f16_e32 v30, v11, v22
	v_mul_f16_e32 v21, v68, v36
	v_mul_f16_e32 v22, v68, v25
	v_fma_f16 v11, v11, v35, -v20
	v_add_f16_e32 v15, v15, v10
	v_add_f16_e32 v17, v17, v18
	v_fmac_f16_e32 v21, v23, v25
	v_fma_f16 v20, v23, v36, -v22
	v_mul_f16_e32 v22, v67, v37
	v_mul_f16_e32 v23, v67, v26
	v_add_f16_e32 v15, v15, v11
	v_add_f16_e32 v17, v17, v30
	v_sub_f16_e32 v47, v27, v20
	v_fmac_f16_e32 v22, v24, v26
	v_fma_f16 v23, v24, v37, -v23
	v_add_f16_e32 v15, v15, v20
	v_add_f16_e32 v17, v17, v21
	;; [unrolled: 1-line block ×4, first 2 shown]
	v_sub_f16_e32 v24, v7, v23
	v_add_f16_e32 v15, v15, v23
	v_add_f16_e32 v17, v17, v22
	;; [unrolled: 1-line block ×3, first 2 shown]
	v_sub_f16_e32 v22, v38, v22
	v_mul_f16_e32 v23, 0xb853, v24
	v_lshlrev_b32_e32 v15, 16, v15
	v_and_b32_e32 v17, 0xffff, v17
	v_mul_f16_e32 v26, 0x3abb, v7
	v_mul_f16_e32 v34, 0x36a6, v7
	;; [unrolled: 1-line block ×4, first 2 shown]
	v_or_b32_e32 v15, v15, v17
	v_mul_f16_e32 v17, 0xbb47, v24
	v_mul_f16_e32 v40, 0xba0c, v24
	;; [unrolled: 1-line block ×5, first 2 shown]
	v_fmamk_f16 v31, v25, 0x3abb, v23
	v_fmamk_f16 v32, v22, 0x3853, v26
	v_fma_f16 v23, v25, 0x3abb, -v23
	v_fmac_f16_e32 v26, 0xb853, v22
	v_fmamk_f16 v33, v25, 0x36a6, v17
	v_fmamk_f16 v36, v22, 0x3b47, v34
	v_fma_f16 v17, v25, 0x36a6, -v17
	v_fmac_f16_e32 v34, 0xbb47, v22
	;; [unrolled: 4-line block ×4, first 2 shown]
	v_fmamk_f16 v44, v25, 0xbbad, v24
	v_fmamk_f16 v48, v22, 0x3482, v7
	v_fma_f16 v24, v25, 0xbbad, -v24
	v_add_f16_e32 v25, v28, v21
	v_mul_f16_e32 v27, 0xbb47, v47
	v_fmac_f16_e32 v7, 0xb482, v22
	v_sub_f16_e32 v21, v28, v21
	v_mul_f16_e32 v22, 0x36a6, v20
	v_add_f16_e32 v31, v31, v2
	v_add_f16_e32 v32, v32, v12
	v_add_f16_e32 v23, v23, v2
	v_add_f16_e32 v26, v26, v12
	v_add_f16_e32 v33, v33, v2
	v_add_f16_e32 v36, v36, v12
	v_add_f16_e32 v17, v17, v2
	v_add_f16_e32 v34, v34, v12
	v_add_f16_e32 v38, v38, v2
	v_add_f16_e32 v39, v39, v12
	v_add_f16_e32 v35, v35, v2
	v_add_f16_e32 v37, v37, v12
	v_add_f16_e32 v42, v42, v2
	v_add_f16_e32 v43, v43, v12
	v_add_f16_e32 v40, v40, v2
	v_add_f16_e32 v41, v41, v12
	v_add_f16_e32 v44, v44, v2
	v_add_f16_e32 v28, v48, v12
	v_fmamk_f16 v48, v25, 0x36a6, v27
	v_add_f16_e32 v2, v24, v2
	v_add_f16_e32 v7, v7, v12
	v_fmamk_f16 v12, v21, 0x3b47, v22
	v_mul_f16_e32 v24, 0xba0c, v47
	v_add_f16_e32 v31, v48, v31
	v_fma_f16 v27, v25, 0x36a6, -v27
	v_fmac_f16_e32 v22, 0xbb47, v21
	v_add_f16_e32 v12, v12, v32
	v_fmamk_f16 v32, v25, 0xb93d, v24
	v_mul_f16_e32 v48, 0xb93d, v20
	v_add_f16_e32 v23, v27, v23
	v_add_f16_e32 v22, v22, v26
	v_mul_f16_e32 v26, 0x3482, v47
	v_add_f16_e32 v27, v32, v33
	v_fmamk_f16 v32, v21, 0x3a0c, v48
	v_fma_f16 v24, v25, 0xb93d, -v24
	v_fmac_f16_e32 v48, 0xba0c, v21
	v_mul_f16_e32 v49, 0xbbad, v20
	v_fmamk_f16 v33, v25, 0xbbad, v26
	v_add_f16_e32 v32, v32, v36
	v_add_f16_e32 v17, v24, v17
	;; [unrolled: 1-line block ×3, first 2 shown]
	v_fmamk_f16 v34, v21, 0xb482, v49
	v_mul_f16_e32 v36, 0x3beb, v47
	v_add_f16_e32 v33, v33, v38
	v_fma_f16 v26, v25, 0xbbad, -v26
	v_mul_f16_e32 v38, 0xb08e, v20
	v_add_f16_e32 v34, v34, v39
	v_fmamk_f16 v39, v25, 0xb08e, v36
	v_mul_f16_e32 v47, 0x3853, v47
	v_fma_f16 v36, v25, 0xb08e, -v36
	v_add_f16_e32 v26, v26, v35
	v_fmamk_f16 v35, v21, 0xbbeb, v38
	v_add_f16_e32 v39, v39, v42
	v_fmac_f16_e32 v38, 0x3beb, v21
	v_fmamk_f16 v42, v25, 0x3abb, v47
	v_add_f16_e32 v36, v36, v40
	v_sub_f16_e32 v40, v13, v11
	v_add_f16_e32 v35, v35, v43
	v_mul_f16_e32 v20, 0x3abb, v20
	v_add_f16_e32 v38, v38, v41
	v_add_f16_e32 v41, v42, v44
	;; [unrolled: 1-line block ×3, first 2 shown]
	v_mul_f16_e32 v44, 0xbbeb, v40
	v_add_f16_e32 v11, v13, v11
	v_fmac_f16_e32 v49, 0x3482, v21
	v_fmamk_f16 v42, v21, 0xb853, v20
	v_fma_f16 v13, v25, 0x3abb, -v47
	v_fmac_f16_e32 v20, 0x3853, v21
	v_sub_f16_e32 v21, v29, v30
	v_fmamk_f16 v25, v43, 0xb08e, v44
	v_mul_f16_e32 v29, 0xb08e, v11
	v_add_f16_e32 v2, v13, v2
	v_add_f16_e32 v7, v20, v7
	v_fma_f16 v30, v43, 0xb08e, -v44
	v_add_f16_e32 v13, v25, v31
	v_fmamk_f16 v20, v21, 0x3beb, v29
	v_mul_f16_e32 v25, 0x3482, v40
	v_fmac_f16_e32 v29, 0xbbeb, v21
	v_mul_f16_e32 v31, 0xbbad, v11
	v_add_f16_e32 v23, v30, v23
	v_add_f16_e32 v12, v20, v12
	v_fmamk_f16 v20, v43, 0xbbad, v25
	v_add_f16_e32 v22, v29, v22
	v_fmamk_f16 v29, v21, 0xb482, v31
	v_mul_f16_e32 v30, 0x3b47, v40
	v_fma_f16 v25, v43, 0xbbad, -v25
	v_add_f16_e32 v20, v20, v27
	v_fmac_f16_e32 v31, 0x3482, v21
	v_add_f16_e32 v27, v29, v32
	v_fmamk_f16 v29, v43, 0x36a6, v30
	v_mul_f16_e32 v32, 0x36a6, v11
	v_add_f16_e32 v17, v25, v17
	v_mul_f16_e32 v25, 0xb853, v40
	v_add_f16_e32 v37, v49, v37
	v_add_f16_e32 v28, v42, v28
	;; [unrolled: 1-line block ×4, first 2 shown]
	v_fmamk_f16 v31, v21, 0xbb47, v32
	v_fma_f16 v30, v43, 0x36a6, -v30
	v_fmac_f16_e32 v32, 0x3b47, v21
	v_fmamk_f16 v33, v43, 0x3abb, v25
	v_mul_f16_e32 v42, 0x3abb, v11
	v_mul_f16_e32 v11, 0xb93d, v11
	v_add_f16_e32 v26, v30, v26
	v_add_f16_e32 v30, v32, v37
	;; [unrolled: 1-line block ×3, first 2 shown]
	v_fmamk_f16 v33, v21, 0x3853, v42
	v_fma_f16 v25, v43, 0x3abb, -v25
	v_fmac_f16_e32 v42, 0xb853, v21
	v_add_f16_e32 v31, v31, v34
	v_mul_f16_e32 v34, 0xba0c, v40
	v_fmamk_f16 v37, v21, 0x3a0c, v11
	v_add_f16_e32 v25, v25, v36
	v_add_f16_e32 v36, v42, v38
	v_sub_f16_e32 v38, v6, v10
	v_add_f16_e32 v6, v6, v10
	v_add_f16_e32 v33, v33, v35
	v_fmamk_f16 v35, v43, 0xb93d, v34
	v_add_f16_e32 v28, v37, v28
	v_add_f16_e32 v37, v5, v18
	v_mul_f16_e32 v10, 0xba0c, v38
	v_fma_f16 v34, v43, 0xb93d, -v34
	v_fmac_f16_e32 v11, 0xba0c, v21
	v_sub_f16_e32 v5, v5, v18
	v_mul_f16_e32 v18, 0xb93d, v6
	v_fmamk_f16 v21, v37, 0xb93d, v10
	v_add_f16_e32 v2, v34, v2
	v_add_f16_e32 v7, v11, v7
	v_mul_f16_e32 v11, 0x3beb, v38
	v_fmamk_f16 v34, v5, 0x3a0c, v18
	v_add_f16_e32 v13, v21, v13
	v_fma_f16 v10, v37, 0xb93d, -v10
	v_fmac_f16_e32 v18, 0xba0c, v5
	v_fmamk_f16 v21, v37, 0xb08e, v11
	v_add_f16_e32 v12, v34, v12
	v_mul_f16_e32 v34, 0xb08e, v6
	v_add_f16_e32 v10, v10, v23
	v_add_f16_e32 v18, v18, v22
	;; [unrolled: 1-line block ×3, first 2 shown]
	v_mul_f16_e32 v21, 0xb853, v38
	v_fmamk_f16 v22, v5, 0xbbeb, v34
	v_fma_f16 v11, v37, 0xb08e, -v11
	v_fmac_f16_e32 v34, 0x3beb, v5
	v_mul_f16_e32 v23, 0x3abb, v6
	v_fmamk_f16 v39, v37, 0x3abb, v21
	v_add_f16_e32 v22, v22, v27
	v_add_f16_e32 v11, v11, v17
	;; [unrolled: 1-line block ×3, first 2 shown]
	v_fmamk_f16 v24, v5, 0x3853, v23
	v_add_f16_e32 v27, v39, v29
	v_mul_f16_e32 v29, 0xb482, v38
	v_fma_f16 v21, v37, 0x3abb, -v21
	v_fmac_f16_e32 v23, 0xb853, v5
	v_add_f16_e32 v24, v24, v31
	v_mul_f16_e32 v31, 0xbbad, v6
	v_fmamk_f16 v34, v37, 0xbbad, v29
	v_add_f16_e32 v21, v21, v26
	v_add_f16_e32 v23, v23, v30
	v_mul_f16_e32 v26, 0x3b47, v38
	v_fmamk_f16 v30, v5, 0x3482, v31
	v_add_f16_e32 v35, v35, v41
	v_add_f16_e32 v32, v34, v32
	v_fma_f16 v29, v37, 0xbbad, -v29
	v_fmac_f16_e32 v31, 0xb482, v5
	v_fmamk_f16 v34, v37, 0x36a6, v26
	v_add_f16_e32 v30, v30, v33
	v_mul_f16_e32 v6, 0x36a6, v6
	v_sub_f16_e32 v33, v8, v9
	v_add_f16_e32 v8, v8, v9
	v_add_f16_e32 v25, v29, v25
	;; [unrolled: 1-line block ×4, first 2 shown]
	v_fmamk_f16 v34, v5, 0xbb47, v6
	v_fma_f16 v26, v37, 0x36a6, -v26
	v_add_f16_e32 v9, v14, v19
	v_mul_f16_e32 v35, 0xb482, v33
	v_fmac_f16_e32 v6, 0x3b47, v5
	v_sub_f16_e32 v5, v14, v19
	v_mul_f16_e32 v14, 0xbbad, v8
	v_add_f16_e32 v19, v34, v28
	v_fmamk_f16 v28, v9, 0xbbad, v35
	v_add_f16_e32 v2, v26, v2
	v_add_f16_e32 v6, v6, v7
	v_fmamk_f16 v7, v5, 0x3482, v14
	v_mul_f16_e32 v26, 0x3853, v33
	v_fmac_f16_e32 v14, 0xb482, v5
	v_add_f16_e32 v13, v28, v13
	v_fma_f16 v28, v9, 0xbbad, -v35
	v_add_f16_e32 v7, v7, v12
	v_fmamk_f16 v12, v9, 0x3abb, v26
	v_mul_f16_e32 v34, 0x3abb, v8
	v_add_f16_e32 v14, v14, v18
	v_mul_f16_e32 v18, 0xba0c, v33
	v_add_f16_e32 v10, v28, v10
	v_add_f16_e32 v12, v12, v20
	v_fmamk_f16 v20, v5, 0xb853, v34
	v_fma_f16 v26, v9, 0x3abb, -v26
	v_fmamk_f16 v28, v9, 0xb93d, v18
	v_mul_f16_e32 v35, 0xb93d, v8
	v_fma_f16 v18, v9, 0xb93d, -v18
	v_add_f16_e32 v20, v20, v22
	v_add_f16_e32 v11, v26, v11
	;; [unrolled: 1-line block ×3, first 2 shown]
	v_fmamk_f16 v26, v5, 0x3a0c, v35
	v_mul_f16_e32 v27, 0x3b47, v33
	v_fmac_f16_e32 v35, 0xba0c, v5
	v_mul_f16_e32 v28, 0x36a6, v8
	v_add_f16_e32 v18, v18, v21
	v_add_f16_e32 v24, v26, v24
	v_fmamk_f16 v26, v9, 0x36a6, v27
	v_add_f16_e32 v21, v35, v23
	v_fmamk_f16 v23, v5, 0xbb47, v28
	v_fma_f16 v27, v9, 0x36a6, -v27
	v_mul_f16_e32 v8, 0xb08e, v8
	v_add_f16_e32 v26, v26, v32
	v_mul_f16_e32 v32, 0xbbeb, v33
	v_add_f16_e32 v23, v23, v30
	v_add_f16_e32 v25, v27, v25
	v_fmac_f16_e32 v28, 0x3b47, v5
	v_fmamk_f16 v30, v5, 0x3beb, v8
	v_fmamk_f16 v27, v9, 0xb08e, v32
	v_fma_f16 v9, v9, 0xb08e, -v32
	v_fmac_f16_e32 v8, 0xbbeb, v5
	v_fmac_f16_e32 v34, 0x3853, v5
	v_add_f16_e32 v5, v28, v29
	v_add_f16_e32 v27, v27, v31
	;; [unrolled: 1-line block ×6, first 2 shown]
	v_pack_b32_f16 v9, v12, v20
	v_pack_b32_f16 v12, v22, v24
	v_add_nc_u32_e32 v6, 0x200, v45
	v_pack_b32_f16 v8, v2, v8
	v_pack_b32_f16 v22, v25, v5
	v_add_nc_u32_e32 v5, 0xa00, v45
	v_add_nc_u32_e32 v2, 0xe00, v45
	v_pack_b32_f16 v7, v13, v7
	v_pack_b32_f16 v13, v26, v23
	;; [unrolled: 1-line block ×3, first 2 shown]
	v_add_nc_u32_e32 v20, 0x600, v45
	v_pack_b32_f16 v18, v18, v21
	v_pack_b32_f16 v11, v11, v17
	;; [unrolled: 1-line block ×3, first 2 shown]
	ds_store_b32 v45, v15
	ds_store_b32 v45, v7 offset:476
	ds_store_2addr_b32 v6, v9, v12 offset0:110 offset1:229
	ds_store_2addr_b32 v20, v13, v19 offset0:92 offset1:211
	;; [unrolled: 1-line block ×4, first 2 shown]
	ds_store_b32 v45, v10 offset:4760
	global_wb scope:SCOPE_SE
	s_wait_dscnt 0x0
	s_barrier_signal -1
	s_barrier_wait -1
	global_inv scope:SCOPE_SE
	s_and_b32 exec_lo, exec_lo, vcc_lo
	s_cbranch_execz .LBB0_23
; %bb.22:
	global_load_b32 v7, v45, s[8:9]
	ds_load_b32 v8, v45
	s_mov_b32 s10, 0xd336f476
	s_mov_b32 s11, 0x3f490868
	v_mad_co_u64_u32 v[13:14], null, s4, v46, 0
	s_wait_dscnt 0x0
	v_lshrrev_b32_e32 v9, 16, v8
	s_wait_loadcnt 0x0
	v_lshrrev_b32_e32 v10, 16, v7
	s_delay_alu instid0(VALU_DEP_1) | instskip(SKIP_1) | instid1(VALU_DEP_2)
	v_mul_f16_e32 v11, v9, v10
	v_mul_f16_e32 v10, v8, v10
	v_fmac_f16_e32 v11, v8, v7
	s_delay_alu instid0(VALU_DEP_2) | instskip(NEXT) | instid1(VALU_DEP_2)
	v_fma_f16 v7, v7, v9, -v10
	v_cvt_f32_f16_e32 v8, v11
	s_delay_alu instid0(VALU_DEP_2) | instskip(SKIP_1) | instid1(VALU_DEP_3)
	v_cvt_f32_f16_e32 v9, v7
	v_mad_co_u64_u32 v[11:12], null, s6, v16, 0
	v_cvt_f64_f32_e32 v[7:8], v8
	s_delay_alu instid0(VALU_DEP_3) | instskip(SKIP_1) | instid1(VALU_DEP_2)
	v_cvt_f64_f32_e32 v[9:10], v9
	s_wait_alu 0xfffe
	v_mul_f64_e32 v[7:8], s[10:11], v[7:8]
	s_delay_alu instid0(VALU_DEP_2) | instskip(NEXT) | instid1(VALU_DEP_2)
	v_mul_f64_e32 v[9:10], s[10:11], v[9:10]
	v_and_or_b32 v7, 0x1ff, v8, v7
	s_delay_alu instid0(VALU_DEP_2)
	v_and_or_b32 v9, 0x1ff, v10, v9
	v_lshrrev_b32_e32 v15, 8, v8
	v_bfe_u32 v17, v8, 20, 11
	v_bfe_u32 v19, v10, 20, 11
	v_cmp_ne_u32_e32 vcc_lo, 0, v7
	v_lshrrev_b32_e32 v18, 8, v10
	v_mov_b32_e32 v7, v14
	v_sub_nc_u32_e32 v21, 0x3f1, v17
	v_sub_nc_u32_e32 v22, 0x3f1, v19
	v_cndmask_b32_e64 v20, 0, 1, vcc_lo
	v_cmp_ne_u32_e32 vcc_lo, 0, v9
	v_add_nc_u32_e32 v19, 0xfffffc10, v19
	v_lshrrev_b32_e32 v10, 16, v10
	s_delay_alu instid0(VALU_DEP_4) | instskip(SKIP_3) | instid1(VALU_DEP_2)
	v_and_or_b32 v20, 0xffe, v15, v20
	s_wait_alu 0xfffd
	v_cndmask_b32_e64 v9, 0, 1, vcc_lo
	v_mad_co_u64_u32 v[14:15], null, s7, v16, v[12:13]
	v_and_or_b32 v9, 0xffe, v18, v9
	v_med3_i32 v18, v21, 0, 13
	v_med3_i32 v21, v22, 0, 13
	v_or_b32_e32 v22, 0x1000, v20
	v_mov_b32_e32 v12, v14
	v_or_b32_e32 v23, 0x1000, v9
	v_mad_co_u64_u32 v[15:16], null, s5, v46, v[7:8]
	s_delay_alu instid0(VALU_DEP_4) | instskip(NEXT) | instid1(VALU_DEP_4)
	v_lshrrev_b32_e32 v7, v18, v22
	v_lshlrev_b64_e32 v[11:12], 2, v[11:12]
	s_delay_alu instid0(VALU_DEP_4) | instskip(SKIP_1) | instid1(VALU_DEP_3)
	v_lshrrev_b32_e32 v16, v21, v23
	s_mul_u64 s[4:5], s[4:5], 0x134
	v_lshlrev_b32_e32 v18, v18, v7
	s_delay_alu instid0(VALU_DEP_2) | instskip(NEXT) | instid1(VALU_DEP_2)
	v_dual_mov_b32 v14, v15 :: v_dual_lshlrev_b32 v15, v21, v16
	v_cmp_ne_u32_e32 vcc_lo, v18, v22
	s_wait_alu 0xfffd
	v_cndmask_b32_e64 v18, 0, 1, vcc_lo
	s_delay_alu instid0(VALU_DEP_3) | instskip(NEXT) | instid1(VALU_DEP_2)
	v_cmp_ne_u32_e32 vcc_lo, v15, v23
	v_or_b32_e32 v7, v7, v18
	s_wait_alu 0xfffd
	v_cndmask_b32_e64 v15, 0, 1, vcc_lo
	v_lshl_or_b32 v18, v19, 12, v9
	s_delay_alu instid0(VALU_DEP_2) | instskip(SKIP_2) | instid1(VALU_DEP_2)
	v_or_b32_e32 v15, v16, v15
	v_add_nc_u32_e32 v17, 0xfffffc10, v17
	v_lshrrev_b32_e32 v16, 16, v8
	v_lshl_or_b32 v21, v17, 12, v20
	v_cmp_gt_i32_e32 vcc_lo, 1, v17
	s_wait_alu 0xfffd
	s_delay_alu instid0(VALU_DEP_2) | instskip(SKIP_4) | instid1(VALU_DEP_2)
	v_cndmask_b32_e32 v7, v21, v7, vcc_lo
	v_cmp_gt_i32_e32 vcc_lo, 1, v19
	s_wait_alu 0xfffd
	v_cndmask_b32_e32 v8, v18, v15, vcc_lo
	v_cmp_ne_u32_e32 vcc_lo, 0, v20
	v_and_b32_e32 v20, 7, v8
	s_wait_alu 0xfffd
	v_cndmask_b32_e64 v15, 0, 1, vcc_lo
	v_and_b32_e32 v18, 7, v7
	v_cmp_ne_u32_e32 vcc_lo, 0, v9
	v_lshrrev_b32_e32 v7, 2, v7
	v_cmp_lt_i32_e64 s1, 5, v20
	v_cmp_eq_u32_e64 s2, 3, v20
	v_cmp_eq_u32_e64 s0, 3, v18
	s_wait_alu 0xfffd
	v_cndmask_b32_e64 v9, 0, 1, vcc_lo
	v_cmp_lt_i32_e32 vcc_lo, 5, v18
	v_lshrrev_b32_e32 v8, 2, v8
	v_lshl_or_b32 v15, v15, 9, 0x7c00
	s_delay_alu instid0(VALU_DEP_4)
	v_lshl_or_b32 v9, v9, 9, 0x7c00
	s_or_b32 vcc_lo, s0, vcc_lo
	s_wait_alu 0xfffe
	v_add_co_ci_u32_e32 v7, vcc_lo, 0, v7, vcc_lo
	s_or_b32 vcc_lo, s2, s1
	s_wait_alu 0xfffe
	v_add_co_ci_u32_e32 v8, vcc_lo, 0, v8, vcc_lo
	v_cmp_gt_i32_e32 vcc_lo, 31, v17
	s_wait_alu 0xfffd
	v_cndmask_b32_e32 v7, 0x7c00, v7, vcc_lo
	v_cmp_gt_i32_e32 vcc_lo, 31, v19
	s_wait_alu 0xfffd
	v_cndmask_b32_e32 v18, 0x7c00, v8, vcc_lo
	v_cmp_eq_u32_e32 vcc_lo, 0x40f, v17
	s_wait_alu 0xfffd
	v_cndmask_b32_e32 v15, v7, v15, vcc_lo
	v_cmp_eq_u32_e32 vcc_lo, 0x40f, v19
	v_lshlrev_b64_e32 v[7:8], 2, v[13:14]
	s_delay_alu instid0(VALU_DEP_3)
	v_and_or_b32 v13, 0x8000, v16, v15
	s_wait_alu 0xfffd
	v_cndmask_b32_e32 v9, v18, v9, vcc_lo
	v_add_co_u32 v11, vcc_lo, s12, v11
	s_wait_alu 0xfffd
	v_add_co_ci_u32_e32 v12, vcc_lo, s13, v12, vcc_lo
	s_delay_alu instid0(VALU_DEP_3) | instskip(SKIP_4) | instid1(VALU_DEP_3)
	v_and_or_b32 v9, 0x8000, v10, v9
	v_and_b32_e32 v10, 0xffff, v13
	v_add_co_u32 v7, vcc_lo, v11, v7
	s_wait_alu 0xfffd
	v_add_co_ci_u32_e32 v8, vcc_lo, v12, v8, vcc_lo
	v_lshl_or_b32 v9, v9, 16, v10
	global_store_b32 v[7:8], v9, off
	global_load_b32 v11, v45, s[8:9] offset:308
	ds_load_2addr_b32 v[9:10], v45 offset0:77 offset1:154
	s_wait_dscnt 0x0
	v_lshrrev_b32_e32 v12, 16, v9
	s_wait_loadcnt 0x0
	v_lshrrev_b32_e32 v13, 16, v11
	s_delay_alu instid0(VALU_DEP_1) | instskip(SKIP_1) | instid1(VALU_DEP_2)
	v_mul_f16_e32 v14, v12, v13
	v_mul_f16_e32 v13, v9, v13
	v_fmac_f16_e32 v14, v9, v11
	s_delay_alu instid0(VALU_DEP_2) | instskip(NEXT) | instid1(VALU_DEP_2)
	v_fma_f16 v9, v11, v12, -v13
	v_cvt_f32_f16_e32 v11, v14
	s_delay_alu instid0(VALU_DEP_2) | instskip(NEXT) | instid1(VALU_DEP_2)
	v_cvt_f32_f16_e32 v9, v9
	v_cvt_f64_f32_e32 v[11:12], v11
	s_delay_alu instid0(VALU_DEP_2) | instskip(NEXT) | instid1(VALU_DEP_2)
	v_cvt_f64_f32_e32 v[13:14], v9
	v_mul_f64_e32 v[11:12], s[10:11], v[11:12]
	s_delay_alu instid0(VALU_DEP_2) | instskip(NEXT) | instid1(VALU_DEP_2)
	v_mul_f64_e32 v[13:14], s[10:11], v[13:14]
	v_and_or_b32 v9, 0x1ff, v12, v11
	s_delay_alu instid0(VALU_DEP_2)
	v_and_or_b32 v13, 0x1ff, v14, v13
	v_lshrrev_b32_e32 v11, 8, v12
	v_bfe_u32 v15, v12, 20, 11
	v_lshrrev_b32_e32 v16, 8, v14
	v_cmp_ne_u32_e32 vcc_lo, 0, v9
	v_bfe_u32 v17, v14, 20, 11
	v_lshrrev_b32_e32 v12, 16, v12
	v_sub_nc_u32_e32 v18, 0x3f1, v15
	v_add_nc_u32_e32 v15, 0xfffffc10, v15
	s_wait_alu 0xfffd
	v_cndmask_b32_e64 v9, 0, 1, vcc_lo
	v_cmp_ne_u32_e32 vcc_lo, 0, v13
	v_lshrrev_b32_e32 v14, 16, v14
	s_delay_alu instid0(VALU_DEP_3) | instskip(SKIP_4) | instid1(VALU_DEP_3)
	v_and_or_b32 v9, 0xffe, v11, v9
	s_wait_alu 0xfffd
	v_cndmask_b32_e64 v13, 0, 1, vcc_lo
	v_sub_nc_u32_e32 v11, 0x3f1, v17
	v_add_nc_u32_e32 v17, 0xfffffc10, v17
	v_and_or_b32 v13, 0xffe, v16, v13
	v_med3_i32 v16, v18, 0, 13
	v_or_b32_e32 v18, 0x1000, v9
	v_med3_i32 v11, v11, 0, 13
	s_delay_alu instid0(VALU_DEP_4) | instskip(NEXT) | instid1(VALU_DEP_3)
	v_or_b32_e32 v19, 0x1000, v13
	v_lshrrev_b32_e32 v20, v16, v18
	s_delay_alu instid0(VALU_DEP_2) | instskip(NEXT) | instid1(VALU_DEP_2)
	v_lshrrev_b32_e32 v21, v11, v19
	v_lshlrev_b32_e32 v16, v16, v20
	s_delay_alu instid0(VALU_DEP_2) | instskip(NEXT) | instid1(VALU_DEP_2)
	v_lshlrev_b32_e32 v11, v11, v21
	v_cmp_ne_u32_e32 vcc_lo, v16, v18
	v_lshl_or_b32 v18, v15, 12, v9
	s_wait_alu 0xfffd
	v_cndmask_b32_e64 v16, 0, 1, vcc_lo
	v_cmp_ne_u32_e32 vcc_lo, v11, v19
	v_lshl_or_b32 v19, v17, 12, v13
	s_delay_alu instid0(VALU_DEP_3) | instskip(SKIP_3) | instid1(VALU_DEP_2)
	v_or_b32_e32 v16, v20, v16
	s_wait_alu 0xfffd
	v_cndmask_b32_e64 v11, 0, 1, vcc_lo
	v_cmp_gt_i32_e32 vcc_lo, 1, v15
	v_or_b32_e32 v11, v21, v11
	s_wait_alu 0xfffd
	v_cndmask_b32_e32 v16, v18, v16, vcc_lo
	v_cmp_gt_i32_e32 vcc_lo, 1, v17
	s_wait_alu 0xfffd
	s_delay_alu instid0(VALU_DEP_2) | instskip(SKIP_2) | instid1(VALU_DEP_3)
	v_dual_cndmask_b32 v11, v19, v11 :: v_dual_and_b32 v18, 7, v16
	v_cmp_ne_u32_e32 vcc_lo, 0, v9
	v_lshrrev_b32_e32 v16, 2, v16
	v_cmp_eq_u32_e64 s0, 3, v18
	s_wait_alu 0xfffd
	v_cndmask_b32_e64 v9, 0, 1, vcc_lo
	v_cmp_ne_u32_e32 vcc_lo, 0, v13
	s_delay_alu instid0(VALU_DEP_2) | instskip(SKIP_3) | instid1(VALU_DEP_2)
	v_lshl_or_b32 v9, v9, 9, 0x7c00
	s_wait_alu 0xfffd
	v_cndmask_b32_e64 v13, 0, 1, vcc_lo
	v_cmp_lt_i32_e32 vcc_lo, 5, v18
	v_lshl_or_b32 v13, v13, 9, 0x7c00
	s_or_b32 vcc_lo, s0, vcc_lo
	s_wait_alu 0xfffe
	v_add_co_ci_u32_e32 v16, vcc_lo, 0, v16, vcc_lo
	v_and_b32_e32 v19, 7, v11
	v_lshrrev_b32_e32 v11, 2, v11
	s_delay_alu instid0(VALU_DEP_2) | instskip(SKIP_1) | instid1(VALU_DEP_1)
	v_cmp_lt_i32_e64 s1, 5, v19
	v_cmp_eq_u32_e64 s2, 3, v19
	s_or_b32 vcc_lo, s2, s1
	s_wait_alu 0xfffe
	v_add_co_ci_u32_e32 v11, vcc_lo, 0, v11, vcc_lo
	v_cmp_gt_i32_e32 vcc_lo, 31, v15
	s_wait_alu 0xfffd
	v_cndmask_b32_e32 v16, 0x7c00, v16, vcc_lo
	v_cmp_gt_i32_e32 vcc_lo, 31, v17
	s_wait_alu 0xfffd
	v_cndmask_b32_e32 v11, 0x7c00, v11, vcc_lo
	v_cmp_eq_u32_e32 vcc_lo, 0x40f, v15
	s_wait_alu 0xfffd
	v_cndmask_b32_e32 v9, v16, v9, vcc_lo
	v_cmp_eq_u32_e32 vcc_lo, 0x40f, v17
	s_delay_alu instid0(VALU_DEP_2)
	v_and_or_b32 v9, 0x8000, v12, v9
	s_wait_alu 0xfffd
	v_cndmask_b32_e32 v11, v11, v13, vcc_lo
	v_add_co_u32 v7, vcc_lo, v7, s4
	s_wait_alu 0xfffd
	v_add_co_ci_u32_e32 v8, vcc_lo, s5, v8, vcc_lo
	s_delay_alu instid0(VALU_DEP_3) | instskip(SKIP_1) | instid1(VALU_DEP_1)
	v_and_or_b32 v11, 0x8000, v14, v11
	v_and_b32_e32 v9, 0xffff, v9
	v_lshl_or_b32 v9, v11, 16, v9
	v_lshrrev_b32_e32 v11, 16, v10
	global_store_b32 v[7:8], v9, off
	global_load_b32 v9, v45, s[8:9] offset:616
	s_wait_loadcnt 0x0
	v_lshrrev_b32_e32 v12, 16, v9
	s_delay_alu instid0(VALU_DEP_1) | instskip(SKIP_1) | instid1(VALU_DEP_2)
	v_mul_f16_e32 v13, v11, v12
	v_mul_f16_e32 v12, v10, v12
	v_fmac_f16_e32 v13, v10, v9
	s_delay_alu instid0(VALU_DEP_2) | instskip(NEXT) | instid1(VALU_DEP_2)
	v_fma_f16 v9, v9, v11, -v12
	v_cvt_f32_f16_e32 v10, v13
	s_delay_alu instid0(VALU_DEP_2) | instskip(NEXT) | instid1(VALU_DEP_2)
	v_cvt_f32_f16_e32 v11, v9
	v_cvt_f64_f32_e32 v[9:10], v10
	s_delay_alu instid0(VALU_DEP_2) | instskip(NEXT) | instid1(VALU_DEP_2)
	v_cvt_f64_f32_e32 v[11:12], v11
	v_mul_f64_e32 v[9:10], s[10:11], v[9:10]
	s_delay_alu instid0(VALU_DEP_2) | instskip(NEXT) | instid1(VALU_DEP_2)
	v_mul_f64_e32 v[11:12], s[10:11], v[11:12]
	v_and_or_b32 v9, 0x1ff, v10, v9
	s_delay_alu instid0(VALU_DEP_2)
	v_and_or_b32 v11, 0x1ff, v12, v11
	v_lshrrev_b32_e32 v13, 8, v10
	v_bfe_u32 v14, v10, 20, 11
	v_lshrrev_b32_e32 v15, 8, v12
	v_cmp_ne_u32_e32 vcc_lo, 0, v9
	v_bfe_u32 v16, v12, 20, 11
	v_lshrrev_b32_e32 v10, 16, v10
	v_sub_nc_u32_e32 v17, 0x3f1, v14
	v_add_nc_u32_e32 v14, 0xfffffc10, v14
	s_wait_alu 0xfffd
	v_cndmask_b32_e64 v9, 0, 1, vcc_lo
	v_cmp_ne_u32_e32 vcc_lo, 0, v11
	v_lshrrev_b32_e32 v12, 16, v12
	s_delay_alu instid0(VALU_DEP_3) | instskip(SKIP_3) | instid1(VALU_DEP_2)
	v_and_or_b32 v9, 0xffe, v13, v9
	s_wait_alu 0xfffd
	v_cndmask_b32_e64 v11, 0, 1, vcc_lo
	v_sub_nc_u32_e32 v13, 0x3f1, v16
	v_and_or_b32 v11, 0xffe, v15, v11
	v_med3_i32 v15, v17, 0, 13
	v_or_b32_e32 v17, 0x1000, v9
	s_delay_alu instid0(VALU_DEP_4) | instskip(NEXT) | instid1(VALU_DEP_4)
	v_med3_i32 v13, v13, 0, 13
	v_or_b32_e32 v18, 0x1000, v11
	s_delay_alu instid0(VALU_DEP_3) | instskip(NEXT) | instid1(VALU_DEP_2)
	v_lshrrev_b32_e32 v19, v15, v17
	v_lshrrev_b32_e32 v20, v13, v18
	s_delay_alu instid0(VALU_DEP_2) | instskip(NEXT) | instid1(VALU_DEP_2)
	v_lshlrev_b32_e32 v15, v15, v19
	v_lshlrev_b32_e32 v13, v13, v20
	s_delay_alu instid0(VALU_DEP_2) | instskip(SKIP_4) | instid1(VALU_DEP_2)
	v_cmp_ne_u32_e32 vcc_lo, v15, v17
	v_lshl_or_b32 v17, v14, 12, v9
	s_wait_alu 0xfffd
	v_cndmask_b32_e64 v15, 0, 1, vcc_lo
	v_cmp_ne_u32_e32 vcc_lo, v13, v18
	v_or_b32_e32 v15, v19, v15
	s_wait_alu 0xfffd
	v_cndmask_b32_e64 v13, 0, 1, vcc_lo
	v_cmp_gt_i32_e32 vcc_lo, 1, v14
	v_add_nc_u32_e32 v16, 0xfffffc10, v16
	s_delay_alu instid0(VALU_DEP_3) | instskip(SKIP_2) | instid1(VALU_DEP_3)
	v_or_b32_e32 v13, v20, v13
	s_wait_alu 0xfffd
	v_cndmask_b32_e32 v15, v17, v15, vcc_lo
	v_lshl_or_b32 v18, v16, 12, v11
	v_cmp_gt_i32_e32 vcc_lo, 1, v16
	s_delay_alu instid0(VALU_DEP_3)
	v_and_b32_e32 v17, 7, v15
	v_lshrrev_b32_e32 v15, 2, v15
	s_wait_alu 0xfffd
	v_cndmask_b32_e32 v13, v18, v13, vcc_lo
	v_cmp_ne_u32_e32 vcc_lo, 0, v9
	v_cmp_eq_u32_e64 s0, 3, v17
	s_delay_alu instid0(VALU_DEP_3)
	v_and_b32_e32 v18, 7, v13
	s_wait_alu 0xfffd
	v_cndmask_b32_e64 v9, 0, 1, vcc_lo
	v_cmp_ne_u32_e32 vcc_lo, 0, v11
	v_lshrrev_b32_e32 v13, 2, v13
	v_cmp_lt_i32_e64 s1, 5, v18
	v_cmp_eq_u32_e64 s2, 3, v18
	s_wait_alu 0xfffd
	v_cndmask_b32_e64 v11, 0, 1, vcc_lo
	v_cmp_lt_i32_e32 vcc_lo, 5, v17
	v_lshl_or_b32 v9, v9, 9, 0x7c00
	s_delay_alu instid0(VALU_DEP_3)
	v_lshl_or_b32 v11, v11, 9, 0x7c00
	s_or_b32 vcc_lo, s0, vcc_lo
	s_wait_alu 0xfffe
	v_add_co_ci_u32_e32 v15, vcc_lo, 0, v15, vcc_lo
	s_or_b32 vcc_lo, s2, s1
	s_wait_alu 0xfffe
	v_add_co_ci_u32_e32 v13, vcc_lo, 0, v13, vcc_lo
	v_cmp_gt_i32_e32 vcc_lo, 31, v14
	s_wait_alu 0xfffd
	v_cndmask_b32_e32 v15, 0x7c00, v15, vcc_lo
	v_cmp_gt_i32_e32 vcc_lo, 31, v16
	s_wait_alu 0xfffd
	v_cndmask_b32_e32 v13, 0x7c00, v13, vcc_lo
	v_cmp_eq_u32_e32 vcc_lo, 0x40f, v14
	s_wait_alu 0xfffd
	v_cndmask_b32_e32 v9, v15, v9, vcc_lo
	v_cmp_eq_u32_e32 vcc_lo, 0x40f, v16
	s_delay_alu instid0(VALU_DEP_2)
	v_and_or_b32 v9, 0x8000, v10, v9
	s_wait_alu 0xfffd
	v_cndmask_b32_e32 v11, v13, v11, vcc_lo
	v_add_co_u32 v7, vcc_lo, v7, s4
	s_wait_alu 0xfffd
	v_add_co_ci_u32_e32 v8, vcc_lo, s5, v8, vcc_lo
	s_delay_alu instid0(VALU_DEP_3) | instskip(SKIP_1) | instid1(VALU_DEP_1)
	v_and_or_b32 v10, 0x8000, v12, v11
	v_and_b32_e32 v9, 0xffff, v9
	v_lshl_or_b32 v9, v10, 16, v9
	global_store_b32 v[7:8], v9, off
	global_load_b32 v11, v45, s[8:9] offset:924
	ds_load_2addr_b32 v[9:10], v6 offset0:103 offset1:180
	s_wait_dscnt 0x0
	v_lshrrev_b32_e32 v6, 16, v9
	s_wait_loadcnt 0x0
	v_lshrrev_b32_e32 v12, 16, v11
	s_delay_alu instid0(VALU_DEP_1) | instskip(SKIP_1) | instid1(VALU_DEP_2)
	v_mul_f16_e32 v13, v6, v12
	v_mul_f16_e32 v12, v9, v12
	v_fmac_f16_e32 v13, v9, v11
	s_delay_alu instid0(VALU_DEP_2) | instskip(NEXT) | instid1(VALU_DEP_2)
	v_fma_f16 v6, v11, v6, -v12
	v_cvt_f32_f16_e32 v9, v13
	s_delay_alu instid0(VALU_DEP_2) | instskip(NEXT) | instid1(VALU_DEP_2)
	v_cvt_f32_f16_e32 v6, v6
	v_cvt_f64_f32_e32 v[11:12], v9
	s_delay_alu instid0(VALU_DEP_2) | instskip(NEXT) | instid1(VALU_DEP_2)
	v_cvt_f64_f32_e32 v[13:14], v6
	v_mul_f64_e32 v[11:12], s[10:11], v[11:12]
	s_delay_alu instid0(VALU_DEP_2) | instskip(NEXT) | instid1(VALU_DEP_2)
	v_mul_f64_e32 v[13:14], s[10:11], v[13:14]
	v_and_or_b32 v6, 0x1ff, v12, v11
	s_delay_alu instid0(VALU_DEP_2)
	v_and_or_b32 v13, 0x1ff, v14, v13
	v_lshrrev_b32_e32 v9, 8, v12
	v_bfe_u32 v11, v12, 20, 11
	v_lshrrev_b32_e32 v15, 8, v14
	v_cmp_ne_u32_e32 vcc_lo, 0, v6
	v_bfe_u32 v16, v14, 20, 11
	v_lshrrev_b32_e32 v12, 16, v12
	v_sub_nc_u32_e32 v17, 0x3f1, v11
	v_add_nc_u32_e32 v11, 0xfffffc10, v11
	s_wait_alu 0xfffd
	v_cndmask_b32_e64 v6, 0, 1, vcc_lo
	v_cmp_ne_u32_e32 vcc_lo, 0, v13
	s_delay_alu instid0(VALU_DEP_2) | instskip(SKIP_4) | instid1(VALU_DEP_3)
	v_and_or_b32 v6, 0xffe, v9, v6
	s_wait_alu 0xfffd
	v_cndmask_b32_e64 v13, 0, 1, vcc_lo
	v_sub_nc_u32_e32 v9, 0x3f1, v16
	v_add_nc_u32_e32 v16, 0xfffffc10, v16
	v_and_or_b32 v13, 0xffe, v15, v13
	v_med3_i32 v15, v17, 0, 13
	v_or_b32_e32 v17, 0x1000, v6
	v_med3_i32 v9, v9, 0, 13
	s_delay_alu instid0(VALU_DEP_4) | instskip(NEXT) | instid1(VALU_DEP_3)
	v_or_b32_e32 v18, 0x1000, v13
	v_lshrrev_b32_e32 v19, v15, v17
	s_delay_alu instid0(VALU_DEP_2) | instskip(NEXT) | instid1(VALU_DEP_2)
	v_lshrrev_b32_e32 v20, v9, v18
	v_lshlrev_b32_e32 v15, v15, v19
	s_delay_alu instid0(VALU_DEP_2) | instskip(NEXT) | instid1(VALU_DEP_2)
	v_lshlrev_b32_e32 v9, v9, v20
	v_cmp_ne_u32_e32 vcc_lo, v15, v17
	v_lshl_or_b32 v17, v11, 12, v6
	s_wait_alu 0xfffd
	v_cndmask_b32_e64 v15, 0, 1, vcc_lo
	v_cmp_ne_u32_e32 vcc_lo, v9, v18
	v_lshl_or_b32 v18, v16, 12, v13
	s_delay_alu instid0(VALU_DEP_3) | instskip(SKIP_3) | instid1(VALU_DEP_2)
	v_or_b32_e32 v15, v19, v15
	s_wait_alu 0xfffd
	v_cndmask_b32_e64 v9, 0, 1, vcc_lo
	v_cmp_gt_i32_e32 vcc_lo, 1, v11
	v_or_b32_e32 v9, v20, v9
	s_wait_alu 0xfffd
	v_cndmask_b32_e32 v15, v17, v15, vcc_lo
	v_cmp_gt_i32_e32 vcc_lo, 1, v16
	s_delay_alu instid0(VALU_DEP_2)
	v_and_b32_e32 v17, 7, v15
	s_wait_alu 0xfffd
	v_cndmask_b32_e32 v9, v18, v9, vcc_lo
	v_cmp_ne_u32_e32 vcc_lo, 0, v6
	v_lshrrev_b32_e32 v15, 2, v15
	v_cmp_eq_u32_e64 s0, 3, v17
	s_delay_alu instid0(VALU_DEP_4)
	v_and_b32_e32 v18, 7, v9
	s_wait_alu 0xfffd
	v_cndmask_b32_e64 v6, 0, 1, vcc_lo
	v_cmp_ne_u32_e32 vcc_lo, 0, v13
	v_lshrrev_b32_e32 v9, 2, v9
	v_cmp_lt_i32_e64 s1, 5, v18
	v_cmp_eq_u32_e64 s2, 3, v18
	s_wait_alu 0xfffd
	v_cndmask_b32_e64 v13, 0, 1, vcc_lo
	v_cmp_lt_i32_e32 vcc_lo, 5, v17
	v_lshl_or_b32 v6, v6, 9, 0x7c00
	s_delay_alu instid0(VALU_DEP_3)
	v_lshl_or_b32 v13, v13, 9, 0x7c00
	s_or_b32 vcc_lo, s0, vcc_lo
	s_wait_alu 0xfffe
	v_add_co_ci_u32_e32 v15, vcc_lo, 0, v15, vcc_lo
	s_or_b32 vcc_lo, s2, s1
	s_wait_alu 0xfffe
	v_add_co_ci_u32_e32 v9, vcc_lo, 0, v9, vcc_lo
	v_cmp_gt_i32_e32 vcc_lo, 31, v11
	s_wait_alu 0xfffd
	v_cndmask_b32_e32 v15, 0x7c00, v15, vcc_lo
	v_cmp_gt_i32_e32 vcc_lo, 31, v16
	s_wait_alu 0xfffd
	v_cndmask_b32_e32 v9, 0x7c00, v9, vcc_lo
	v_cmp_eq_u32_e32 vcc_lo, 0x40f, v11
	v_lshrrev_b32_e32 v11, 16, v14
	s_wait_alu 0xfffd
	v_cndmask_b32_e32 v6, v15, v6, vcc_lo
	v_cmp_eq_u32_e32 vcc_lo, 0x40f, v16
	s_delay_alu instid0(VALU_DEP_2) | instskip(SKIP_2) | instid1(VALU_DEP_1)
	v_and_or_b32 v6, 0x8000, v12, v6
	s_wait_alu 0xfffd
	v_cndmask_b32_e32 v9, v9, v13, vcc_lo
	v_and_or_b32 v9, 0x8000, v11, v9
	s_delay_alu instid0(VALU_DEP_3) | instskip(SKIP_3) | instid1(VALU_DEP_3)
	v_and_b32_e32 v11, 0xffff, v6
	v_add_co_u32 v6, vcc_lo, v7, s4
	s_wait_alu 0xfffd
	v_add_co_ci_u32_e32 v7, vcc_lo, s5, v8, vcc_lo
	v_lshl_or_b32 v8, v9, 16, v11
	v_lshrrev_b32_e32 v9, 16, v10
	global_store_b32 v[6:7], v8, off
	global_load_b32 v8, v45, s[8:9] offset:1232
	s_wait_loadcnt 0x0
	v_lshrrev_b32_e32 v11, 16, v8
	s_delay_alu instid0(VALU_DEP_1) | instskip(SKIP_1) | instid1(VALU_DEP_2)
	v_mul_f16_e32 v12, v9, v11
	v_mul_f16_e32 v11, v10, v11
	v_fmac_f16_e32 v12, v10, v8
	s_delay_alu instid0(VALU_DEP_2) | instskip(NEXT) | instid1(VALU_DEP_2)
	v_fma_f16 v8, v8, v9, -v11
	v_cvt_f32_f16_e32 v9, v12
	s_delay_alu instid0(VALU_DEP_2) | instskip(NEXT) | instid1(VALU_DEP_2)
	v_cvt_f32_f16_e32 v10, v8
	v_cvt_f64_f32_e32 v[8:9], v9
	s_delay_alu instid0(VALU_DEP_2) | instskip(NEXT) | instid1(VALU_DEP_2)
	v_cvt_f64_f32_e32 v[10:11], v10
	v_mul_f64_e32 v[8:9], s[10:11], v[8:9]
	s_delay_alu instid0(VALU_DEP_2) | instskip(NEXT) | instid1(VALU_DEP_2)
	v_mul_f64_e32 v[10:11], s[10:11], v[10:11]
	v_and_or_b32 v8, 0x1ff, v9, v8
	s_delay_alu instid0(VALU_DEP_2)
	v_and_or_b32 v10, 0x1ff, v11, v10
	v_lshrrev_b32_e32 v12, 8, v9
	v_bfe_u32 v13, v9, 20, 11
	v_lshrrev_b32_e32 v14, 8, v11
	v_cmp_ne_u32_e32 vcc_lo, 0, v8
	v_bfe_u32 v15, v11, 20, 11
	v_lshrrev_b32_e32 v9, 16, v9
	v_sub_nc_u32_e32 v16, 0x3f1, v13
	v_add_nc_u32_e32 v13, 0xfffffc10, v13
	s_wait_alu 0xfffd
	v_cndmask_b32_e64 v8, 0, 1, vcc_lo
	v_cmp_ne_u32_e32 vcc_lo, 0, v10
	v_lshrrev_b32_e32 v11, 16, v11
	s_delay_alu instid0(VALU_DEP_3) | instskip(SKIP_4) | instid1(VALU_DEP_3)
	v_and_or_b32 v8, 0xffe, v12, v8
	s_wait_alu 0xfffd
	v_cndmask_b32_e64 v10, 0, 1, vcc_lo
	v_sub_nc_u32_e32 v12, 0x3f1, v15
	v_add_nc_u32_e32 v15, 0xfffffc10, v15
	v_and_or_b32 v10, 0xffe, v14, v10
	v_med3_i32 v14, v16, 0, 13
	v_or_b32_e32 v16, 0x1000, v8
	v_med3_i32 v12, v12, 0, 13
	s_delay_alu instid0(VALU_DEP_4) | instskip(NEXT) | instid1(VALU_DEP_3)
	v_or_b32_e32 v17, 0x1000, v10
	v_lshrrev_b32_e32 v18, v14, v16
	s_delay_alu instid0(VALU_DEP_2) | instskip(NEXT) | instid1(VALU_DEP_2)
	v_lshrrev_b32_e32 v19, v12, v17
	v_lshlrev_b32_e32 v14, v14, v18
	s_delay_alu instid0(VALU_DEP_2) | instskip(NEXT) | instid1(VALU_DEP_2)
	v_lshlrev_b32_e32 v12, v12, v19
	v_cmp_ne_u32_e32 vcc_lo, v14, v16
	v_lshl_or_b32 v16, v13, 12, v8
	s_wait_alu 0xfffd
	v_cndmask_b32_e64 v14, 0, 1, vcc_lo
	v_cmp_ne_u32_e32 vcc_lo, v12, v17
	v_lshl_or_b32 v17, v15, 12, v10
	s_delay_alu instid0(VALU_DEP_3) | instskip(SKIP_3) | instid1(VALU_DEP_2)
	v_or_b32_e32 v14, v18, v14
	s_wait_alu 0xfffd
	v_cndmask_b32_e64 v12, 0, 1, vcc_lo
	v_cmp_gt_i32_e32 vcc_lo, 1, v13
	v_or_b32_e32 v12, v19, v12
	s_wait_alu 0xfffd
	v_cndmask_b32_e32 v14, v16, v14, vcc_lo
	v_cmp_gt_i32_e32 vcc_lo, 1, v15
	s_delay_alu instid0(VALU_DEP_2)
	v_and_b32_e32 v16, 7, v14
	s_wait_alu 0xfffd
	v_cndmask_b32_e32 v12, v17, v12, vcc_lo
	v_cmp_ne_u32_e32 vcc_lo, 0, v8
	v_lshrrev_b32_e32 v14, 2, v14
	v_cmp_eq_u32_e64 s0, 3, v16
	s_delay_alu instid0(VALU_DEP_4)
	v_and_b32_e32 v17, 7, v12
	s_wait_alu 0xfffd
	v_cndmask_b32_e64 v8, 0, 1, vcc_lo
	v_cmp_ne_u32_e32 vcc_lo, 0, v10
	v_lshrrev_b32_e32 v12, 2, v12
	v_cmp_lt_i32_e64 s1, 5, v17
	v_cmp_eq_u32_e64 s2, 3, v17
	s_wait_alu 0xfffd
	v_cndmask_b32_e64 v10, 0, 1, vcc_lo
	v_cmp_lt_i32_e32 vcc_lo, 5, v16
	v_lshl_or_b32 v8, v8, 9, 0x7c00
	s_delay_alu instid0(VALU_DEP_3)
	v_lshl_or_b32 v10, v10, 9, 0x7c00
	s_or_b32 vcc_lo, s0, vcc_lo
	s_wait_alu 0xfffe
	v_add_co_ci_u32_e32 v14, vcc_lo, 0, v14, vcc_lo
	s_or_b32 vcc_lo, s2, s1
	s_wait_alu 0xfffe
	v_add_co_ci_u32_e32 v12, vcc_lo, 0, v12, vcc_lo
	v_cmp_gt_i32_e32 vcc_lo, 31, v13
	s_wait_alu 0xfffd
	v_cndmask_b32_e32 v14, 0x7c00, v14, vcc_lo
	v_cmp_gt_i32_e32 vcc_lo, 31, v15
	s_wait_alu 0xfffd
	v_cndmask_b32_e32 v12, 0x7c00, v12, vcc_lo
	v_cmp_eq_u32_e32 vcc_lo, 0x40f, v13
	s_wait_alu 0xfffd
	v_cndmask_b32_e32 v8, v14, v8, vcc_lo
	v_cmp_eq_u32_e32 vcc_lo, 0x40f, v15
	s_delay_alu instid0(VALU_DEP_2)
	v_and_or_b32 v8, 0x8000, v9, v8
	s_wait_alu 0xfffd
	v_cndmask_b32_e32 v10, v12, v10, vcc_lo
	v_add_co_u32 v6, vcc_lo, v6, s4
	s_wait_alu 0xfffd
	v_add_co_ci_u32_e32 v7, vcc_lo, s5, v7, vcc_lo
	s_delay_alu instid0(VALU_DEP_3) | instskip(SKIP_1) | instid1(VALU_DEP_1)
	v_and_or_b32 v9, 0x8000, v11, v10
	v_and_b32_e32 v8, 0xffff, v8
	v_lshl_or_b32 v8, v9, 16, v8
	global_store_b32 v[6:7], v8, off
	global_load_b32 v10, v45, s[8:9] offset:1540
	ds_load_2addr_b32 v[8:9], v4 offset0:129 offset1:206
	s_wait_dscnt 0x0
	v_lshrrev_b32_e32 v4, 16, v8
	s_wait_loadcnt 0x0
	v_lshrrev_b32_e32 v11, 16, v10
	s_delay_alu instid0(VALU_DEP_1) | instskip(SKIP_1) | instid1(VALU_DEP_2)
	v_mul_f16_e32 v12, v4, v11
	v_mul_f16_e32 v11, v8, v11
	v_fmac_f16_e32 v12, v8, v10
	s_delay_alu instid0(VALU_DEP_2) | instskip(NEXT) | instid1(VALU_DEP_2)
	v_fma_f16 v4, v10, v4, -v11
	v_cvt_f32_f16_e32 v8, v12
	s_delay_alu instid0(VALU_DEP_2) | instskip(NEXT) | instid1(VALU_DEP_2)
	v_cvt_f32_f16_e32 v4, v4
	v_cvt_f64_f32_e32 v[10:11], v8
	s_delay_alu instid0(VALU_DEP_2) | instskip(NEXT) | instid1(VALU_DEP_2)
	v_cvt_f64_f32_e32 v[12:13], v4
	v_mul_f64_e32 v[10:11], s[10:11], v[10:11]
	s_delay_alu instid0(VALU_DEP_2) | instskip(NEXT) | instid1(VALU_DEP_2)
	v_mul_f64_e32 v[12:13], s[10:11], v[12:13]
	v_and_or_b32 v4, 0x1ff, v11, v10
	s_delay_alu instid0(VALU_DEP_2)
	v_and_or_b32 v12, 0x1ff, v13, v12
	v_lshrrev_b32_e32 v8, 8, v11
	v_bfe_u32 v10, v11, 20, 11
	v_lshrrev_b32_e32 v14, 8, v13
	v_cmp_ne_u32_e32 vcc_lo, 0, v4
	v_bfe_u32 v15, v13, 20, 11
	v_lshrrev_b32_e32 v11, 16, v11
	v_sub_nc_u32_e32 v16, 0x3f1, v10
	v_add_nc_u32_e32 v10, 0xfffffc10, v10
	s_wait_alu 0xfffd
	v_cndmask_b32_e64 v4, 0, 1, vcc_lo
	v_cmp_ne_u32_e32 vcc_lo, 0, v12
	s_delay_alu instid0(VALU_DEP_2) | instskip(SKIP_4) | instid1(VALU_DEP_3)
	v_and_or_b32 v4, 0xffe, v8, v4
	s_wait_alu 0xfffd
	v_cndmask_b32_e64 v12, 0, 1, vcc_lo
	v_sub_nc_u32_e32 v8, 0x3f1, v15
	v_add_nc_u32_e32 v15, 0xfffffc10, v15
	v_and_or_b32 v12, 0xffe, v14, v12
	v_med3_i32 v14, v16, 0, 13
	v_or_b32_e32 v16, 0x1000, v4
	v_med3_i32 v8, v8, 0, 13
	s_delay_alu instid0(VALU_DEP_4) | instskip(NEXT) | instid1(VALU_DEP_3)
	v_or_b32_e32 v17, 0x1000, v12
	v_lshrrev_b32_e32 v18, v14, v16
	s_delay_alu instid0(VALU_DEP_2) | instskip(NEXT) | instid1(VALU_DEP_2)
	v_lshrrev_b32_e32 v19, v8, v17
	v_lshlrev_b32_e32 v14, v14, v18
	s_delay_alu instid0(VALU_DEP_2) | instskip(NEXT) | instid1(VALU_DEP_2)
	v_lshlrev_b32_e32 v8, v8, v19
	v_cmp_ne_u32_e32 vcc_lo, v14, v16
	v_lshl_or_b32 v16, v10, 12, v4
	s_wait_alu 0xfffd
	v_cndmask_b32_e64 v14, 0, 1, vcc_lo
	v_cmp_ne_u32_e32 vcc_lo, v8, v17
	v_lshl_or_b32 v17, v15, 12, v12
	s_delay_alu instid0(VALU_DEP_3) | instskip(SKIP_3) | instid1(VALU_DEP_2)
	v_or_b32_e32 v14, v18, v14
	s_wait_alu 0xfffd
	v_cndmask_b32_e64 v8, 0, 1, vcc_lo
	v_cmp_gt_i32_e32 vcc_lo, 1, v10
	v_or_b32_e32 v8, v19, v8
	s_wait_alu 0xfffd
	v_cndmask_b32_e32 v14, v16, v14, vcc_lo
	v_cmp_gt_i32_e32 vcc_lo, 1, v15
	s_delay_alu instid0(VALU_DEP_2)
	v_and_b32_e32 v16, 7, v14
	s_wait_alu 0xfffd
	v_cndmask_b32_e32 v8, v17, v8, vcc_lo
	v_cmp_ne_u32_e32 vcc_lo, 0, v4
	v_lshrrev_b32_e32 v14, 2, v14
	v_cmp_eq_u32_e64 s0, 3, v16
	s_delay_alu instid0(VALU_DEP_4)
	v_and_b32_e32 v17, 7, v8
	s_wait_alu 0xfffd
	v_cndmask_b32_e64 v4, 0, 1, vcc_lo
	v_cmp_ne_u32_e32 vcc_lo, 0, v12
	v_lshrrev_b32_e32 v8, 2, v8
	v_cmp_lt_i32_e64 s1, 5, v17
	v_cmp_eq_u32_e64 s2, 3, v17
	s_wait_alu 0xfffd
	v_cndmask_b32_e64 v12, 0, 1, vcc_lo
	v_cmp_lt_i32_e32 vcc_lo, 5, v16
	v_lshl_or_b32 v4, v4, 9, 0x7c00
	s_delay_alu instid0(VALU_DEP_3)
	v_lshl_or_b32 v12, v12, 9, 0x7c00
	s_or_b32 vcc_lo, s0, vcc_lo
	s_wait_alu 0xfffe
	v_add_co_ci_u32_e32 v14, vcc_lo, 0, v14, vcc_lo
	s_or_b32 vcc_lo, s2, s1
	s_wait_alu 0xfffe
	v_add_co_ci_u32_e32 v8, vcc_lo, 0, v8, vcc_lo
	v_cmp_gt_i32_e32 vcc_lo, 31, v10
	s_wait_alu 0xfffd
	v_cndmask_b32_e32 v14, 0x7c00, v14, vcc_lo
	v_cmp_gt_i32_e32 vcc_lo, 31, v15
	s_wait_alu 0xfffd
	v_cndmask_b32_e32 v8, 0x7c00, v8, vcc_lo
	v_cmp_eq_u32_e32 vcc_lo, 0x40f, v10
	v_lshrrev_b32_e32 v10, 16, v13
	s_wait_alu 0xfffd
	v_cndmask_b32_e32 v4, v14, v4, vcc_lo
	v_cmp_eq_u32_e32 vcc_lo, 0x40f, v15
	s_delay_alu instid0(VALU_DEP_2)
	v_and_or_b32 v4, 0x8000, v11, v4
	s_wait_alu 0xfffd
	v_cndmask_b32_e32 v8, v8, v12, vcc_lo
	v_add_co_u32 v6, vcc_lo, v6, s4
	s_wait_alu 0xfffd
	v_add_co_ci_u32_e32 v7, vcc_lo, s5, v7, vcc_lo
	s_delay_alu instid0(VALU_DEP_3) | instskip(SKIP_1) | instid1(VALU_DEP_1)
	v_and_or_b32 v8, 0x8000, v10, v8
	v_and_b32_e32 v4, 0xffff, v4
	v_lshl_or_b32 v4, v8, 16, v4
	v_lshrrev_b32_e32 v8, 16, v9
	global_store_b32 v[6:7], v4, off
	global_load_b32 v4, v45, s[8:9] offset:1848
	s_wait_loadcnt 0x0
	v_lshrrev_b32_e32 v10, 16, v4
	s_delay_alu instid0(VALU_DEP_1) | instskip(SKIP_1) | instid1(VALU_DEP_2)
	v_mul_f16_e32 v11, v8, v10
	v_mul_f16_e32 v10, v9, v10
	v_fmac_f16_e32 v11, v9, v4
	s_delay_alu instid0(VALU_DEP_2) | instskip(NEXT) | instid1(VALU_DEP_2)
	v_fma_f16 v4, v4, v8, -v10
	v_cvt_f32_f16_e32 v8, v11
	s_delay_alu instid0(VALU_DEP_2) | instskip(NEXT) | instid1(VALU_DEP_2)
	v_cvt_f32_f16_e32 v4, v4
	v_cvt_f64_f32_e32 v[8:9], v8
	s_delay_alu instid0(VALU_DEP_2) | instskip(NEXT) | instid1(VALU_DEP_2)
	v_cvt_f64_f32_e32 v[10:11], v4
	v_mul_f64_e32 v[8:9], s[10:11], v[8:9]
	s_delay_alu instid0(VALU_DEP_2) | instskip(NEXT) | instid1(VALU_DEP_2)
	v_mul_f64_e32 v[10:11], s[10:11], v[10:11]
	v_and_or_b32 v4, 0x1ff, v9, v8
	s_delay_alu instid0(VALU_DEP_2)
	v_and_or_b32 v10, 0x1ff, v11, v10
	v_lshrrev_b32_e32 v8, 8, v9
	v_bfe_u32 v12, v9, 20, 11
	v_lshrrev_b32_e32 v13, 8, v11
	v_cmp_ne_u32_e32 vcc_lo, 0, v4
	v_bfe_u32 v14, v11, 20, 11
	v_lshrrev_b32_e32 v9, 16, v9
	v_sub_nc_u32_e32 v15, 0x3f1, v12
	v_add_nc_u32_e32 v12, 0xfffffc10, v12
	s_wait_alu 0xfffd
	v_cndmask_b32_e64 v4, 0, 1, vcc_lo
	v_cmp_ne_u32_e32 vcc_lo, 0, v10
	v_lshrrev_b32_e32 v11, 16, v11
	s_delay_alu instid0(VALU_DEP_3) | instskip(SKIP_4) | instid1(VALU_DEP_3)
	v_and_or_b32 v4, 0xffe, v8, v4
	s_wait_alu 0xfffd
	v_cndmask_b32_e64 v10, 0, 1, vcc_lo
	v_sub_nc_u32_e32 v8, 0x3f1, v14
	v_add_nc_u32_e32 v14, 0xfffffc10, v14
	v_and_or_b32 v10, 0xffe, v13, v10
	v_med3_i32 v13, v15, 0, 13
	v_or_b32_e32 v15, 0x1000, v4
	v_med3_i32 v8, v8, 0, 13
	s_delay_alu instid0(VALU_DEP_4) | instskip(NEXT) | instid1(VALU_DEP_3)
	v_or_b32_e32 v16, 0x1000, v10
	v_lshrrev_b32_e32 v17, v13, v15
	s_delay_alu instid0(VALU_DEP_2) | instskip(NEXT) | instid1(VALU_DEP_2)
	v_lshrrev_b32_e32 v18, v8, v16
	v_lshlrev_b32_e32 v13, v13, v17
	s_delay_alu instid0(VALU_DEP_2) | instskip(NEXT) | instid1(VALU_DEP_2)
	v_lshlrev_b32_e32 v8, v8, v18
	v_cmp_ne_u32_e32 vcc_lo, v13, v15
	v_lshl_or_b32 v15, v12, 12, v4
	s_wait_alu 0xfffd
	v_cndmask_b32_e64 v13, 0, 1, vcc_lo
	v_cmp_ne_u32_e32 vcc_lo, v8, v16
	v_lshl_or_b32 v16, v14, 12, v10
	s_delay_alu instid0(VALU_DEP_3) | instskip(SKIP_3) | instid1(VALU_DEP_2)
	v_or_b32_e32 v13, v17, v13
	s_wait_alu 0xfffd
	v_cndmask_b32_e64 v8, 0, 1, vcc_lo
	v_cmp_gt_i32_e32 vcc_lo, 1, v12
	v_or_b32_e32 v8, v18, v8
	s_wait_alu 0xfffd
	v_cndmask_b32_e32 v13, v15, v13, vcc_lo
	v_cmp_gt_i32_e32 vcc_lo, 1, v14
	s_wait_alu 0xfffd
	s_delay_alu instid0(VALU_DEP_2) | instskip(SKIP_2) | instid1(VALU_DEP_3)
	v_dual_cndmask_b32 v8, v16, v8 :: v_dual_and_b32 v15, 7, v13
	v_cmp_ne_u32_e32 vcc_lo, 0, v4
	v_lshrrev_b32_e32 v13, 2, v13
	v_cmp_eq_u32_e64 s0, 3, v15
	s_delay_alu instid0(VALU_DEP_4)
	v_and_b32_e32 v16, 7, v8
	s_wait_alu 0xfffd
	v_cndmask_b32_e64 v4, 0, 1, vcc_lo
	v_cmp_ne_u32_e32 vcc_lo, 0, v10
	v_lshrrev_b32_e32 v8, 2, v8
	v_cmp_lt_i32_e64 s1, 5, v16
	v_cmp_eq_u32_e64 s2, 3, v16
	s_wait_alu 0xfffd
	v_cndmask_b32_e64 v10, 0, 1, vcc_lo
	v_cmp_lt_i32_e32 vcc_lo, 5, v15
	v_lshl_or_b32 v4, v4, 9, 0x7c00
	s_delay_alu instid0(VALU_DEP_3)
	v_lshl_or_b32 v10, v10, 9, 0x7c00
	s_or_b32 vcc_lo, s0, vcc_lo
	s_wait_alu 0xfffe
	v_add_co_ci_u32_e32 v13, vcc_lo, 0, v13, vcc_lo
	s_or_b32 vcc_lo, s2, s1
	s_wait_alu 0xfffe
	v_add_co_ci_u32_e32 v8, vcc_lo, 0, v8, vcc_lo
	v_cmp_gt_i32_e32 vcc_lo, 31, v12
	s_wait_alu 0xfffd
	v_cndmask_b32_e32 v13, 0x7c00, v13, vcc_lo
	v_cmp_gt_i32_e32 vcc_lo, 31, v14
	s_wait_alu 0xfffd
	v_cndmask_b32_e32 v8, 0x7c00, v8, vcc_lo
	v_cmp_eq_u32_e32 vcc_lo, 0x40f, v12
	s_wait_alu 0xfffd
	v_cndmask_b32_e32 v4, v13, v4, vcc_lo
	v_cmp_eq_u32_e32 vcc_lo, 0x40f, v14
	s_delay_alu instid0(VALU_DEP_2)
	v_and_or_b32 v4, 0x8000, v9, v4
	s_wait_alu 0xfffd
	v_cndmask_b32_e32 v8, v8, v10, vcc_lo
	v_add_co_u32 v6, vcc_lo, v6, s4
	s_wait_alu 0xfffd
	v_add_co_ci_u32_e32 v7, vcc_lo, s5, v7, vcc_lo
	s_delay_alu instid0(VALU_DEP_3) | instskip(SKIP_1) | instid1(VALU_DEP_1)
	v_and_or_b32 v8, 0x8000, v11, v8
	v_and_b32_e32 v4, 0xffff, v4
	v_lshl_or_b32 v4, v8, 16, v4
	global_store_b32 v[6:7], v4, off
	global_load_b32 v8, v45, s[8:9] offset:2156
	ds_load_2addr_b32 v[3:4], v3 offset0:27 offset1:104
	s_wait_dscnt 0x0
	v_lshrrev_b32_e32 v9, 16, v3
	s_wait_loadcnt 0x0
	v_lshrrev_b32_e32 v10, 16, v8
	s_delay_alu instid0(VALU_DEP_1) | instskip(SKIP_1) | instid1(VALU_DEP_2)
	v_mul_f16_e32 v11, v9, v10
	v_mul_f16_e32 v10, v3, v10
	v_fmac_f16_e32 v11, v3, v8
	s_delay_alu instid0(VALU_DEP_2) | instskip(NEXT) | instid1(VALU_DEP_2)
	v_fma_f16 v3, v8, v9, -v10
	v_cvt_f32_f16_e32 v8, v11
	s_delay_alu instid0(VALU_DEP_2) | instskip(NEXT) | instid1(VALU_DEP_2)
	v_cvt_f32_f16_e32 v3, v3
	v_cvt_f64_f32_e32 v[8:9], v8
	s_delay_alu instid0(VALU_DEP_2) | instskip(NEXT) | instid1(VALU_DEP_2)
	v_cvt_f64_f32_e32 v[10:11], v3
	v_mul_f64_e32 v[8:9], s[10:11], v[8:9]
	s_delay_alu instid0(VALU_DEP_2) | instskip(NEXT) | instid1(VALU_DEP_2)
	v_mul_f64_e32 v[10:11], s[10:11], v[10:11]
	v_and_or_b32 v3, 0x1ff, v9, v8
	s_delay_alu instid0(VALU_DEP_2)
	v_and_or_b32 v10, 0x1ff, v11, v10
	v_lshrrev_b32_e32 v8, 8, v9
	v_bfe_u32 v12, v9, 20, 11
	v_lshrrev_b32_e32 v13, 8, v11
	v_cmp_ne_u32_e32 vcc_lo, 0, v3
	v_bfe_u32 v14, v11, 20, 11
	v_lshrrev_b32_e32 v9, 16, v9
	v_sub_nc_u32_e32 v15, 0x3f1, v12
	v_add_nc_u32_e32 v12, 0xfffffc10, v12
	s_wait_alu 0xfffd
	v_cndmask_b32_e64 v3, 0, 1, vcc_lo
	v_cmp_ne_u32_e32 vcc_lo, 0, v10
	v_lshrrev_b32_e32 v11, 16, v11
	s_delay_alu instid0(VALU_DEP_3) | instskip(SKIP_4) | instid1(VALU_DEP_3)
	v_and_or_b32 v3, 0xffe, v8, v3
	s_wait_alu 0xfffd
	v_cndmask_b32_e64 v10, 0, 1, vcc_lo
	v_sub_nc_u32_e32 v8, 0x3f1, v14
	v_add_nc_u32_e32 v14, 0xfffffc10, v14
	v_and_or_b32 v10, 0xffe, v13, v10
	v_med3_i32 v13, v15, 0, 13
	v_or_b32_e32 v15, 0x1000, v3
	v_med3_i32 v8, v8, 0, 13
	s_delay_alu instid0(VALU_DEP_4) | instskip(NEXT) | instid1(VALU_DEP_3)
	v_or_b32_e32 v16, 0x1000, v10
	v_lshrrev_b32_e32 v17, v13, v15
	s_delay_alu instid0(VALU_DEP_2) | instskip(NEXT) | instid1(VALU_DEP_2)
	v_lshrrev_b32_e32 v18, v8, v16
	v_lshlrev_b32_e32 v13, v13, v17
	s_delay_alu instid0(VALU_DEP_2) | instskip(NEXT) | instid1(VALU_DEP_2)
	v_lshlrev_b32_e32 v8, v8, v18
	v_cmp_ne_u32_e32 vcc_lo, v13, v15
	v_lshl_or_b32 v15, v12, 12, v3
	s_wait_alu 0xfffd
	v_cndmask_b32_e64 v13, 0, 1, vcc_lo
	v_cmp_ne_u32_e32 vcc_lo, v8, v16
	v_lshl_or_b32 v16, v14, 12, v10
	s_delay_alu instid0(VALU_DEP_3) | instskip(SKIP_3) | instid1(VALU_DEP_2)
	v_or_b32_e32 v13, v17, v13
	s_wait_alu 0xfffd
	v_cndmask_b32_e64 v8, 0, 1, vcc_lo
	v_cmp_gt_i32_e32 vcc_lo, 1, v12
	v_or_b32_e32 v8, v18, v8
	s_wait_alu 0xfffd
	v_cndmask_b32_e32 v13, v15, v13, vcc_lo
	v_cmp_gt_i32_e32 vcc_lo, 1, v14
	s_wait_alu 0xfffd
	s_delay_alu instid0(VALU_DEP_2) | instskip(SKIP_2) | instid1(VALU_DEP_3)
	v_dual_cndmask_b32 v8, v16, v8 :: v_dual_and_b32 v15, 7, v13
	v_cmp_ne_u32_e32 vcc_lo, 0, v3
	v_lshrrev_b32_e32 v13, 2, v13
	v_cmp_eq_u32_e64 s0, 3, v15
	s_delay_alu instid0(VALU_DEP_4)
	v_and_b32_e32 v16, 7, v8
	s_wait_alu 0xfffd
	v_cndmask_b32_e64 v3, 0, 1, vcc_lo
	v_cmp_ne_u32_e32 vcc_lo, 0, v10
	v_lshrrev_b32_e32 v8, 2, v8
	v_cmp_lt_i32_e64 s1, 5, v16
	v_cmp_eq_u32_e64 s2, 3, v16
	s_wait_alu 0xfffd
	v_cndmask_b32_e64 v10, 0, 1, vcc_lo
	v_cmp_lt_i32_e32 vcc_lo, 5, v15
	v_lshl_or_b32 v3, v3, 9, 0x7c00
	s_delay_alu instid0(VALU_DEP_3)
	v_lshl_or_b32 v10, v10, 9, 0x7c00
	s_or_b32 vcc_lo, s0, vcc_lo
	s_wait_alu 0xfffe
	v_add_co_ci_u32_e32 v13, vcc_lo, 0, v13, vcc_lo
	s_or_b32 vcc_lo, s2, s1
	s_wait_alu 0xfffe
	v_add_co_ci_u32_e32 v8, vcc_lo, 0, v8, vcc_lo
	v_cmp_gt_i32_e32 vcc_lo, 31, v12
	s_wait_alu 0xfffd
	v_cndmask_b32_e32 v13, 0x7c00, v13, vcc_lo
	v_cmp_gt_i32_e32 vcc_lo, 31, v14
	s_wait_alu 0xfffd
	v_cndmask_b32_e32 v8, 0x7c00, v8, vcc_lo
	v_cmp_eq_u32_e32 vcc_lo, 0x40f, v12
	s_wait_alu 0xfffd
	v_cndmask_b32_e32 v3, v13, v3, vcc_lo
	v_cmp_eq_u32_e32 vcc_lo, 0x40f, v14
	s_delay_alu instid0(VALU_DEP_2)
	v_and_or_b32 v3, 0x8000, v9, v3
	s_wait_alu 0xfffd
	v_cndmask_b32_e32 v8, v8, v10, vcc_lo
	v_add_co_u32 v6, vcc_lo, v6, s4
	s_wait_alu 0xfffd
	v_add_co_ci_u32_e32 v7, vcc_lo, s5, v7, vcc_lo
	s_delay_alu instid0(VALU_DEP_3) | instskip(SKIP_1) | instid1(VALU_DEP_1)
	v_and_or_b32 v8, 0x8000, v11, v8
	v_and_b32_e32 v3, 0xffff, v3
	v_lshl_or_b32 v3, v8, 16, v3
	v_lshrrev_b32_e32 v8, 16, v4
	global_store_b32 v[6:7], v3, off
	global_load_b32 v3, v45, s[8:9] offset:2464
	s_wait_loadcnt 0x0
	v_lshrrev_b32_e32 v9, 16, v3
	s_delay_alu instid0(VALU_DEP_1) | instskip(SKIP_1) | instid1(VALU_DEP_2)
	v_mul_f16_e32 v10, v8, v9
	v_mul_f16_e32 v9, v4, v9
	v_fmac_f16_e32 v10, v4, v3
	s_delay_alu instid0(VALU_DEP_2) | instskip(NEXT) | instid1(VALU_DEP_2)
	v_fma_f16 v3, v3, v8, -v9
	v_cvt_f32_f16_e32 v4, v10
	s_delay_alu instid0(VALU_DEP_2) | instskip(NEXT) | instid1(VALU_DEP_2)
	v_cvt_f32_f16_e32 v8, v3
	v_cvt_f64_f32_e32 v[3:4], v4
	s_delay_alu instid0(VALU_DEP_2) | instskip(NEXT) | instid1(VALU_DEP_2)
	v_cvt_f64_f32_e32 v[8:9], v8
	v_mul_f64_e32 v[3:4], s[10:11], v[3:4]
	s_delay_alu instid0(VALU_DEP_2) | instskip(NEXT) | instid1(VALU_DEP_2)
	v_mul_f64_e32 v[8:9], s[10:11], v[8:9]
	v_and_or_b32 v3, 0x1ff, v4, v3
	s_delay_alu instid0(VALU_DEP_2)
	v_and_or_b32 v8, 0x1ff, v9, v8
	v_lshrrev_b32_e32 v10, 8, v4
	v_bfe_u32 v11, v4, 20, 11
	v_lshrrev_b32_e32 v12, 8, v9
	v_cmp_ne_u32_e32 vcc_lo, 0, v3
	v_bfe_u32 v13, v9, 20, 11
	v_lshrrev_b32_e32 v4, 16, v4
	v_sub_nc_u32_e32 v14, 0x3f1, v11
	v_add_nc_u32_e32 v11, 0xfffffc10, v11
	s_wait_alu 0xfffd
	v_cndmask_b32_e64 v3, 0, 1, vcc_lo
	v_cmp_ne_u32_e32 vcc_lo, 0, v8
	v_lshrrev_b32_e32 v9, 16, v9
	s_delay_alu instid0(VALU_DEP_3) | instskip(SKIP_4) | instid1(VALU_DEP_3)
	v_and_or_b32 v3, 0xffe, v10, v3
	s_wait_alu 0xfffd
	v_cndmask_b32_e64 v8, 0, 1, vcc_lo
	v_sub_nc_u32_e32 v10, 0x3f1, v13
	v_add_nc_u32_e32 v13, 0xfffffc10, v13
	v_and_or_b32 v8, 0xffe, v12, v8
	v_med3_i32 v12, v14, 0, 13
	v_or_b32_e32 v14, 0x1000, v3
	v_med3_i32 v10, v10, 0, 13
	s_delay_alu instid0(VALU_DEP_4) | instskip(NEXT) | instid1(VALU_DEP_3)
	v_or_b32_e32 v15, 0x1000, v8
	v_lshrrev_b32_e32 v16, v12, v14
	s_delay_alu instid0(VALU_DEP_2) | instskip(NEXT) | instid1(VALU_DEP_2)
	v_lshrrev_b32_e32 v17, v10, v15
	v_lshlrev_b32_e32 v12, v12, v16
	s_delay_alu instid0(VALU_DEP_2) | instskip(NEXT) | instid1(VALU_DEP_2)
	v_lshlrev_b32_e32 v10, v10, v17
	v_cmp_ne_u32_e32 vcc_lo, v12, v14
	v_lshl_or_b32 v14, v11, 12, v3
	s_wait_alu 0xfffd
	v_cndmask_b32_e64 v12, 0, 1, vcc_lo
	v_cmp_ne_u32_e32 vcc_lo, v10, v15
	v_lshl_or_b32 v15, v13, 12, v8
	s_delay_alu instid0(VALU_DEP_3) | instskip(SKIP_3) | instid1(VALU_DEP_2)
	v_or_b32_e32 v12, v16, v12
	s_wait_alu 0xfffd
	v_cndmask_b32_e64 v10, 0, 1, vcc_lo
	v_cmp_gt_i32_e32 vcc_lo, 1, v11
	v_or_b32_e32 v10, v17, v10
	s_wait_alu 0xfffd
	v_cndmask_b32_e32 v12, v14, v12, vcc_lo
	v_cmp_gt_i32_e32 vcc_lo, 1, v13
	s_delay_alu instid0(VALU_DEP_2)
	v_and_b32_e32 v14, 7, v12
	s_wait_alu 0xfffd
	v_cndmask_b32_e32 v10, v15, v10, vcc_lo
	v_cmp_ne_u32_e32 vcc_lo, 0, v3
	v_lshrrev_b32_e32 v12, 2, v12
	v_cmp_eq_u32_e64 s0, 3, v14
	s_wait_alu 0xfffd
	v_cndmask_b32_e64 v3, 0, 1, vcc_lo
	v_cmp_ne_u32_e32 vcc_lo, 0, v8
	s_delay_alu instid0(VALU_DEP_2) | instskip(SKIP_3) | instid1(VALU_DEP_2)
	v_lshl_or_b32 v3, v3, 9, 0x7c00
	s_wait_alu 0xfffd
	v_cndmask_b32_e64 v8, 0, 1, vcc_lo
	v_cmp_lt_i32_e32 vcc_lo, 5, v14
	v_lshl_or_b32 v8, v8, 9, 0x7c00
	s_or_b32 vcc_lo, s0, vcc_lo
	s_wait_alu 0xfffe
	v_add_co_ci_u32_e32 v12, vcc_lo, 0, v12, vcc_lo
	v_and_b32_e32 v15, 7, v10
	v_lshrrev_b32_e32 v10, 2, v10
	s_delay_alu instid0(VALU_DEP_2) | instskip(SKIP_1) | instid1(VALU_DEP_1)
	v_cmp_lt_i32_e64 s1, 5, v15
	v_cmp_eq_u32_e64 s2, 3, v15
	s_or_b32 vcc_lo, s2, s1
	s_wait_alu 0xfffe
	v_add_co_ci_u32_e32 v10, vcc_lo, 0, v10, vcc_lo
	v_cmp_gt_i32_e32 vcc_lo, 31, v11
	s_wait_alu 0xfffd
	v_cndmask_b32_e32 v12, 0x7c00, v12, vcc_lo
	v_cmp_gt_i32_e32 vcc_lo, 31, v13
	s_wait_alu 0xfffd
	v_cndmask_b32_e32 v10, 0x7c00, v10, vcc_lo
	v_cmp_eq_u32_e32 vcc_lo, 0x40f, v11
	s_wait_alu 0xfffd
	v_cndmask_b32_e32 v3, v12, v3, vcc_lo
	v_cmp_eq_u32_e32 vcc_lo, 0x40f, v13
	s_delay_alu instid0(VALU_DEP_2) | instskip(SKIP_2) | instid1(VALU_DEP_1)
	v_and_or_b32 v3, 0x8000, v4, v3
	s_wait_alu 0xfffd
	v_cndmask_b32_e32 v8, v10, v8, vcc_lo
	v_and_or_b32 v8, 0x8000, v9, v8
	s_delay_alu instid0(VALU_DEP_3) | instskip(SKIP_3) | instid1(VALU_DEP_3)
	v_and_b32_e32 v9, 0xffff, v3
	v_add_co_u32 v3, vcc_lo, v6, s4
	s_wait_alu 0xfffd
	v_add_co_ci_u32_e32 v4, vcc_lo, s5, v7, vcc_lo
	v_lshl_or_b32 v6, v8, 16, v9
	global_store_b32 v[3:4], v6, off
	global_load_b32 v7, v45, s[8:9] offset:2772
	ds_load_2addr_b32 v[5:6], v5 offset0:53 offset1:130
	s_wait_dscnt 0x0
	v_lshrrev_b32_e32 v8, 16, v5
	s_wait_loadcnt 0x0
	v_lshrrev_b32_e32 v9, 16, v7
	s_delay_alu instid0(VALU_DEP_1) | instskip(SKIP_1) | instid1(VALU_DEP_2)
	v_mul_f16_e32 v10, v8, v9
	v_mul_f16_e32 v9, v5, v9
	v_fmac_f16_e32 v10, v5, v7
	s_delay_alu instid0(VALU_DEP_2) | instskip(NEXT) | instid1(VALU_DEP_2)
	v_fma_f16 v5, v7, v8, -v9
	v_cvt_f32_f16_e32 v7, v10
	s_delay_alu instid0(VALU_DEP_2) | instskip(NEXT) | instid1(VALU_DEP_2)
	v_cvt_f32_f16_e32 v5, v5
	v_cvt_f64_f32_e32 v[7:8], v7
	s_delay_alu instid0(VALU_DEP_2) | instskip(NEXT) | instid1(VALU_DEP_2)
	v_cvt_f64_f32_e32 v[9:10], v5
	v_mul_f64_e32 v[7:8], s[10:11], v[7:8]
	s_delay_alu instid0(VALU_DEP_2) | instskip(NEXT) | instid1(VALU_DEP_2)
	v_mul_f64_e32 v[9:10], s[10:11], v[9:10]
	v_and_or_b32 v5, 0x1ff, v8, v7
	s_delay_alu instid0(VALU_DEP_2)
	v_and_or_b32 v9, 0x1ff, v10, v9
	v_lshrrev_b32_e32 v7, 8, v8
	v_bfe_u32 v11, v8, 20, 11
	v_lshrrev_b32_e32 v12, 8, v10
	v_cmp_ne_u32_e32 vcc_lo, 0, v5
	v_bfe_u32 v13, v10, 20, 11
	v_lshrrev_b32_e32 v8, 16, v8
	v_sub_nc_u32_e32 v14, 0x3f1, v11
	v_add_nc_u32_e32 v11, 0xfffffc10, v11
	s_wait_alu 0xfffd
	v_cndmask_b32_e64 v5, 0, 1, vcc_lo
	v_cmp_ne_u32_e32 vcc_lo, 0, v9
	v_lshrrev_b32_e32 v10, 16, v10
	s_delay_alu instid0(VALU_DEP_3) | instskip(SKIP_4) | instid1(VALU_DEP_3)
	v_and_or_b32 v5, 0xffe, v7, v5
	s_wait_alu 0xfffd
	v_cndmask_b32_e64 v9, 0, 1, vcc_lo
	v_sub_nc_u32_e32 v7, 0x3f1, v13
	v_add_nc_u32_e32 v13, 0xfffffc10, v13
	v_and_or_b32 v9, 0xffe, v12, v9
	v_med3_i32 v12, v14, 0, 13
	v_or_b32_e32 v14, 0x1000, v5
	v_med3_i32 v7, v7, 0, 13
	s_delay_alu instid0(VALU_DEP_4) | instskip(NEXT) | instid1(VALU_DEP_3)
	v_or_b32_e32 v15, 0x1000, v9
	v_lshrrev_b32_e32 v16, v12, v14
	s_delay_alu instid0(VALU_DEP_2) | instskip(NEXT) | instid1(VALU_DEP_2)
	v_lshrrev_b32_e32 v17, v7, v15
	v_lshlrev_b32_e32 v12, v12, v16
	s_delay_alu instid0(VALU_DEP_2) | instskip(NEXT) | instid1(VALU_DEP_2)
	v_lshlrev_b32_e32 v7, v7, v17
	v_cmp_ne_u32_e32 vcc_lo, v12, v14
	v_lshl_or_b32 v14, v11, 12, v5
	s_wait_alu 0xfffd
	v_cndmask_b32_e64 v12, 0, 1, vcc_lo
	v_cmp_ne_u32_e32 vcc_lo, v7, v15
	v_lshl_or_b32 v15, v13, 12, v9
	s_delay_alu instid0(VALU_DEP_3) | instskip(SKIP_3) | instid1(VALU_DEP_2)
	v_or_b32_e32 v12, v16, v12
	s_wait_alu 0xfffd
	v_cndmask_b32_e64 v7, 0, 1, vcc_lo
	v_cmp_gt_i32_e32 vcc_lo, 1, v11
	v_or_b32_e32 v7, v17, v7
	s_wait_alu 0xfffd
	v_cndmask_b32_e32 v12, v14, v12, vcc_lo
	v_cmp_gt_i32_e32 vcc_lo, 1, v13
	s_wait_alu 0xfffd
	s_delay_alu instid0(VALU_DEP_2) | instskip(SKIP_2) | instid1(VALU_DEP_3)
	v_dual_cndmask_b32 v7, v15, v7 :: v_dual_and_b32 v14, 7, v12
	v_cmp_ne_u32_e32 vcc_lo, 0, v5
	v_lshrrev_b32_e32 v12, 2, v12
	v_cmp_eq_u32_e64 s0, 3, v14
	s_wait_alu 0xfffd
	v_cndmask_b32_e64 v5, 0, 1, vcc_lo
	v_cmp_ne_u32_e32 vcc_lo, 0, v9
	s_delay_alu instid0(VALU_DEP_2) | instskip(SKIP_3) | instid1(VALU_DEP_2)
	v_lshl_or_b32 v5, v5, 9, 0x7c00
	s_wait_alu 0xfffd
	v_cndmask_b32_e64 v9, 0, 1, vcc_lo
	v_cmp_lt_i32_e32 vcc_lo, 5, v14
	v_lshl_or_b32 v9, v9, 9, 0x7c00
	s_or_b32 vcc_lo, s0, vcc_lo
	s_wait_alu 0xfffe
	v_add_co_ci_u32_e32 v12, vcc_lo, 0, v12, vcc_lo
	v_and_b32_e32 v15, 7, v7
	v_lshrrev_b32_e32 v7, 2, v7
	s_delay_alu instid0(VALU_DEP_2) | instskip(SKIP_1) | instid1(VALU_DEP_1)
	v_cmp_lt_i32_e64 s1, 5, v15
	v_cmp_eq_u32_e64 s2, 3, v15
	s_or_b32 vcc_lo, s2, s1
	s_wait_alu 0xfffe
	v_add_co_ci_u32_e32 v7, vcc_lo, 0, v7, vcc_lo
	v_cmp_gt_i32_e32 vcc_lo, 31, v11
	s_wait_alu 0xfffd
	v_cndmask_b32_e32 v12, 0x7c00, v12, vcc_lo
	v_cmp_gt_i32_e32 vcc_lo, 31, v13
	s_wait_alu 0xfffd
	v_cndmask_b32_e32 v7, 0x7c00, v7, vcc_lo
	v_cmp_eq_u32_e32 vcc_lo, 0x40f, v11
	s_wait_alu 0xfffd
	v_cndmask_b32_e32 v5, v12, v5, vcc_lo
	v_cmp_eq_u32_e32 vcc_lo, 0x40f, v13
	s_delay_alu instid0(VALU_DEP_2)
	v_and_or_b32 v5, 0x8000, v8, v5
	s_wait_alu 0xfffd
	v_cndmask_b32_e32 v7, v7, v9, vcc_lo
	v_add_co_u32 v3, vcc_lo, v3, s4
	s_wait_alu 0xfffd
	v_add_co_ci_u32_e32 v4, vcc_lo, s5, v4, vcc_lo
	s_delay_alu instid0(VALU_DEP_3) | instskip(SKIP_1) | instid1(VALU_DEP_1)
	v_and_or_b32 v7, 0x8000, v10, v7
	v_and_b32_e32 v5, 0xffff, v5
	v_lshl_or_b32 v5, v7, 16, v5
	v_lshrrev_b32_e32 v7, 16, v6
	global_store_b32 v[3:4], v5, off
	global_load_b32 v5, v45, s[8:9] offset:3080
	s_wait_loadcnt 0x0
	v_lshrrev_b32_e32 v8, 16, v5
	s_delay_alu instid0(VALU_DEP_1) | instskip(SKIP_1) | instid1(VALU_DEP_2)
	v_mul_f16_e32 v9, v7, v8
	v_mul_f16_e32 v8, v6, v8
	v_fmac_f16_e32 v9, v6, v5
	s_delay_alu instid0(VALU_DEP_2) | instskip(NEXT) | instid1(VALU_DEP_2)
	v_fma_f16 v5, v5, v7, -v8
	v_cvt_f32_f16_e32 v6, v9
	s_delay_alu instid0(VALU_DEP_2) | instskip(NEXT) | instid1(VALU_DEP_2)
	v_cvt_f32_f16_e32 v7, v5
	v_cvt_f64_f32_e32 v[5:6], v6
	s_delay_alu instid0(VALU_DEP_2) | instskip(NEXT) | instid1(VALU_DEP_2)
	v_cvt_f64_f32_e32 v[7:8], v7
	v_mul_f64_e32 v[5:6], s[10:11], v[5:6]
	s_delay_alu instid0(VALU_DEP_2) | instskip(NEXT) | instid1(VALU_DEP_2)
	v_mul_f64_e32 v[7:8], s[10:11], v[7:8]
	v_and_or_b32 v5, 0x1ff, v6, v5
	s_delay_alu instid0(VALU_DEP_2)
	v_and_or_b32 v7, 0x1ff, v8, v7
	v_lshrrev_b32_e32 v9, 8, v6
	v_bfe_u32 v10, v6, 20, 11
	v_lshrrev_b32_e32 v11, 8, v8
	v_cmp_ne_u32_e32 vcc_lo, 0, v5
	v_bfe_u32 v12, v8, 20, 11
	v_lshrrev_b32_e32 v6, 16, v6
	v_sub_nc_u32_e32 v13, 0x3f1, v10
	v_add_nc_u32_e32 v10, 0xfffffc10, v10
	s_wait_alu 0xfffd
	v_cndmask_b32_e64 v5, 0, 1, vcc_lo
	v_cmp_ne_u32_e32 vcc_lo, 0, v7
	v_lshrrev_b32_e32 v8, 16, v8
	s_delay_alu instid0(VALU_DEP_3) | instskip(SKIP_4) | instid1(VALU_DEP_3)
	v_and_or_b32 v5, 0xffe, v9, v5
	s_wait_alu 0xfffd
	v_cndmask_b32_e64 v7, 0, 1, vcc_lo
	v_sub_nc_u32_e32 v9, 0x3f1, v12
	v_add_nc_u32_e32 v12, 0xfffffc10, v12
	v_and_or_b32 v7, 0xffe, v11, v7
	v_med3_i32 v11, v13, 0, 13
	v_or_b32_e32 v13, 0x1000, v5
	v_med3_i32 v9, v9, 0, 13
	s_delay_alu instid0(VALU_DEP_4) | instskip(NEXT) | instid1(VALU_DEP_3)
	v_or_b32_e32 v14, 0x1000, v7
	v_lshrrev_b32_e32 v15, v11, v13
	s_delay_alu instid0(VALU_DEP_2) | instskip(NEXT) | instid1(VALU_DEP_2)
	v_lshrrev_b32_e32 v16, v9, v14
	v_lshlrev_b32_e32 v11, v11, v15
	s_delay_alu instid0(VALU_DEP_2) | instskip(NEXT) | instid1(VALU_DEP_2)
	v_lshlrev_b32_e32 v9, v9, v16
	v_cmp_ne_u32_e32 vcc_lo, v11, v13
	v_lshl_or_b32 v13, v10, 12, v5
	s_wait_alu 0xfffd
	v_cndmask_b32_e64 v11, 0, 1, vcc_lo
	v_cmp_ne_u32_e32 vcc_lo, v9, v14
	v_lshl_or_b32 v14, v12, 12, v7
	s_delay_alu instid0(VALU_DEP_3) | instskip(SKIP_3) | instid1(VALU_DEP_2)
	v_or_b32_e32 v11, v15, v11
	s_wait_alu 0xfffd
	v_cndmask_b32_e64 v9, 0, 1, vcc_lo
	v_cmp_gt_i32_e32 vcc_lo, 1, v10
	v_or_b32_e32 v9, v16, v9
	s_wait_alu 0xfffd
	v_cndmask_b32_e32 v11, v13, v11, vcc_lo
	v_cmp_gt_i32_e32 vcc_lo, 1, v12
	s_delay_alu instid0(VALU_DEP_2)
	v_and_b32_e32 v13, 7, v11
	s_wait_alu 0xfffd
	v_cndmask_b32_e32 v9, v14, v9, vcc_lo
	v_cmp_ne_u32_e32 vcc_lo, 0, v5
	v_lshrrev_b32_e32 v11, 2, v11
	v_cmp_eq_u32_e64 s0, 3, v13
	s_delay_alu instid0(VALU_DEP_4)
	v_and_b32_e32 v14, 7, v9
	s_wait_alu 0xfffd
	v_cndmask_b32_e64 v5, 0, 1, vcc_lo
	v_cmp_ne_u32_e32 vcc_lo, 0, v7
	v_lshrrev_b32_e32 v9, 2, v9
	v_cmp_lt_i32_e64 s1, 5, v14
	v_cmp_eq_u32_e64 s2, 3, v14
	s_wait_alu 0xfffd
	v_cndmask_b32_e64 v7, 0, 1, vcc_lo
	v_cmp_lt_i32_e32 vcc_lo, 5, v13
	v_lshl_or_b32 v5, v5, 9, 0x7c00
	s_delay_alu instid0(VALU_DEP_3)
	v_lshl_or_b32 v7, v7, 9, 0x7c00
	s_or_b32 vcc_lo, s0, vcc_lo
	s_wait_alu 0xfffe
	v_add_co_ci_u32_e32 v11, vcc_lo, 0, v11, vcc_lo
	s_or_b32 vcc_lo, s2, s1
	s_wait_alu 0xfffe
	v_add_co_ci_u32_e32 v9, vcc_lo, 0, v9, vcc_lo
	v_cmp_gt_i32_e32 vcc_lo, 31, v10
	s_wait_alu 0xfffd
	v_cndmask_b32_e32 v11, 0x7c00, v11, vcc_lo
	v_cmp_gt_i32_e32 vcc_lo, 31, v12
	s_wait_alu 0xfffd
	v_cndmask_b32_e32 v9, 0x7c00, v9, vcc_lo
	v_cmp_eq_u32_e32 vcc_lo, 0x40f, v10
	s_wait_alu 0xfffd
	v_cndmask_b32_e32 v5, v11, v5, vcc_lo
	v_cmp_eq_u32_e32 vcc_lo, 0x40f, v12
	s_delay_alu instid0(VALU_DEP_2)
	v_and_or_b32 v5, 0x8000, v6, v5
	s_wait_alu 0xfffd
	v_cndmask_b32_e32 v7, v9, v7, vcc_lo
	v_add_co_u32 v3, vcc_lo, v3, s4
	s_wait_alu 0xfffd
	v_add_co_ci_u32_e32 v4, vcc_lo, s5, v4, vcc_lo
	s_delay_alu instid0(VALU_DEP_3) | instskip(SKIP_1) | instid1(VALU_DEP_1)
	v_and_or_b32 v6, 0x8000, v8, v7
	v_and_b32_e32 v5, 0xffff, v5
	v_lshl_or_b32 v5, v6, 16, v5
	global_store_b32 v[3:4], v5, off
	global_load_b32 v7, v45, s[8:9] offset:3388
	ds_load_2addr_b32 v[5:6], v1 offset0:79 offset1:156
	s_wait_dscnt 0x0
	v_lshrrev_b32_e32 v1, 16, v5
	s_wait_loadcnt 0x0
	v_lshrrev_b32_e32 v8, 16, v7
	s_delay_alu instid0(VALU_DEP_1) | instskip(SKIP_1) | instid1(VALU_DEP_2)
	v_mul_f16_e32 v9, v1, v8
	v_mul_f16_e32 v8, v5, v8
	v_fmac_f16_e32 v9, v5, v7
	s_delay_alu instid0(VALU_DEP_2) | instskip(NEXT) | instid1(VALU_DEP_2)
	v_fma_f16 v1, v7, v1, -v8
	v_cvt_f32_f16_e32 v5, v9
	s_delay_alu instid0(VALU_DEP_2) | instskip(NEXT) | instid1(VALU_DEP_2)
	v_cvt_f32_f16_e32 v1, v1
	v_cvt_f64_f32_e32 v[7:8], v5
	s_delay_alu instid0(VALU_DEP_2) | instskip(NEXT) | instid1(VALU_DEP_2)
	v_cvt_f64_f32_e32 v[9:10], v1
	v_mul_f64_e32 v[7:8], s[10:11], v[7:8]
	s_delay_alu instid0(VALU_DEP_2) | instskip(NEXT) | instid1(VALU_DEP_2)
	v_mul_f64_e32 v[9:10], s[10:11], v[9:10]
	v_and_or_b32 v1, 0x1ff, v8, v7
	s_delay_alu instid0(VALU_DEP_2)
	v_and_or_b32 v9, 0x1ff, v10, v9
	v_lshrrev_b32_e32 v5, 8, v8
	v_bfe_u32 v7, v8, 20, 11
	v_lshrrev_b32_e32 v11, 8, v10
	v_cmp_ne_u32_e32 vcc_lo, 0, v1
	v_bfe_u32 v12, v10, 20, 11
	v_lshrrev_b32_e32 v8, 16, v8
	v_sub_nc_u32_e32 v13, 0x3f1, v7
	v_add_nc_u32_e32 v7, 0xfffffc10, v7
	s_wait_alu 0xfffd
	v_cndmask_b32_e64 v1, 0, 1, vcc_lo
	v_cmp_ne_u32_e32 vcc_lo, 0, v9
	s_delay_alu instid0(VALU_DEP_2) | instskip(SKIP_3) | instid1(VALU_DEP_2)
	v_and_or_b32 v1, 0xffe, v5, v1
	s_wait_alu 0xfffd
	v_cndmask_b32_e64 v9, 0, 1, vcc_lo
	v_sub_nc_u32_e32 v5, 0x3f1, v12
	v_and_or_b32 v9, 0xffe, v11, v9
	v_med3_i32 v11, v13, 0, 13
	v_or_b32_e32 v13, 0x1000, v1
	s_delay_alu instid0(VALU_DEP_4) | instskip(NEXT) | instid1(VALU_DEP_4)
	v_med3_i32 v5, v5, 0, 13
	v_or_b32_e32 v14, 0x1000, v9
	s_delay_alu instid0(VALU_DEP_3) | instskip(NEXT) | instid1(VALU_DEP_2)
	v_lshrrev_b32_e32 v15, v11, v13
	v_lshrrev_b32_e32 v16, v5, v14
	s_delay_alu instid0(VALU_DEP_2) | instskip(NEXT) | instid1(VALU_DEP_2)
	v_lshlrev_b32_e32 v11, v11, v15
	v_lshlrev_b32_e32 v5, v5, v16
	s_delay_alu instid0(VALU_DEP_2) | instskip(SKIP_4) | instid1(VALU_DEP_2)
	v_cmp_ne_u32_e32 vcc_lo, v11, v13
	v_lshl_or_b32 v13, v7, 12, v1
	s_wait_alu 0xfffd
	v_cndmask_b32_e64 v11, 0, 1, vcc_lo
	v_cmp_ne_u32_e32 vcc_lo, v5, v14
	v_or_b32_e32 v11, v15, v11
	s_wait_alu 0xfffd
	v_cndmask_b32_e64 v5, 0, 1, vcc_lo
	v_cmp_gt_i32_e32 vcc_lo, 1, v7
	s_delay_alu instid0(VALU_DEP_2) | instskip(SKIP_2) | instid1(VALU_DEP_1)
	v_or_b32_e32 v5, v16, v5
	s_wait_alu 0xfffd
	v_dual_cndmask_b32 v11, v13, v11 :: v_dual_add_nc_u32 v12, 0xfffffc10, v12
	v_lshl_or_b32 v14, v12, 12, v9
	v_cmp_gt_i32_e32 vcc_lo, 1, v12
	s_delay_alu instid0(VALU_DEP_3)
	v_and_b32_e32 v13, 7, v11
	v_lshrrev_b32_e32 v11, 2, v11
	s_wait_alu 0xfffd
	v_cndmask_b32_e32 v5, v14, v5, vcc_lo
	v_cmp_ne_u32_e32 vcc_lo, 0, v1
	v_cmp_eq_u32_e64 s0, 3, v13
	s_delay_alu instid0(VALU_DEP_3)
	v_and_b32_e32 v14, 7, v5
	s_wait_alu 0xfffd
	v_cndmask_b32_e64 v1, 0, 1, vcc_lo
	v_cmp_ne_u32_e32 vcc_lo, 0, v9
	v_lshrrev_b32_e32 v5, 2, v5
	v_cmp_lt_i32_e64 s1, 5, v14
	v_cmp_eq_u32_e64 s2, 3, v14
	s_wait_alu 0xfffd
	v_cndmask_b32_e64 v9, 0, 1, vcc_lo
	v_cmp_lt_i32_e32 vcc_lo, 5, v13
	v_lshl_or_b32 v1, v1, 9, 0x7c00
	s_delay_alu instid0(VALU_DEP_3)
	v_lshl_or_b32 v9, v9, 9, 0x7c00
	s_or_b32 vcc_lo, s0, vcc_lo
	s_wait_alu 0xfffe
	v_add_co_ci_u32_e32 v11, vcc_lo, 0, v11, vcc_lo
	s_or_b32 vcc_lo, s2, s1
	s_wait_alu 0xfffe
	v_add_co_ci_u32_e32 v5, vcc_lo, 0, v5, vcc_lo
	v_cmp_gt_i32_e32 vcc_lo, 31, v7
	s_wait_alu 0xfffd
	v_cndmask_b32_e32 v11, 0x7c00, v11, vcc_lo
	v_cmp_gt_i32_e32 vcc_lo, 31, v12
	s_wait_alu 0xfffd
	v_cndmask_b32_e32 v5, 0x7c00, v5, vcc_lo
	v_cmp_eq_u32_e32 vcc_lo, 0x40f, v7
	v_lshrrev_b32_e32 v7, 16, v10
	s_wait_alu 0xfffd
	v_cndmask_b32_e32 v1, v11, v1, vcc_lo
	v_cmp_eq_u32_e32 vcc_lo, 0x40f, v12
	s_delay_alu instid0(VALU_DEP_2)
	v_and_or_b32 v1, 0x8000, v8, v1
	s_wait_alu 0xfffd
	v_cndmask_b32_e32 v5, v5, v9, vcc_lo
	v_add_co_u32 v3, vcc_lo, v3, s4
	s_wait_alu 0xfffd
	v_add_co_ci_u32_e32 v4, vcc_lo, s5, v4, vcc_lo
	s_delay_alu instid0(VALU_DEP_3) | instskip(SKIP_1) | instid1(VALU_DEP_1)
	v_and_or_b32 v5, 0x8000, v7, v5
	v_and_b32_e32 v1, 0xffff, v1
	v_lshl_or_b32 v1, v5, 16, v1
	v_lshrrev_b32_e32 v5, 16, v6
	global_store_b32 v[3:4], v1, off
	global_load_b32 v1, v45, s[8:9] offset:3696
	s_wait_loadcnt 0x0
	v_lshrrev_b32_e32 v7, 16, v1
	s_delay_alu instid0(VALU_DEP_1) | instskip(SKIP_1) | instid1(VALU_DEP_2)
	v_mul_f16_e32 v8, v5, v7
	v_mul_f16_e32 v7, v6, v7
	v_fmac_f16_e32 v8, v6, v1
	s_delay_alu instid0(VALU_DEP_2) | instskip(NEXT) | instid1(VALU_DEP_2)
	v_fma_f16 v1, v1, v5, -v7
	v_cvt_f32_f16_e32 v5, v8
	s_delay_alu instid0(VALU_DEP_2) | instskip(NEXT) | instid1(VALU_DEP_2)
	v_cvt_f32_f16_e32 v1, v1
	v_cvt_f64_f32_e32 v[5:6], v5
	s_delay_alu instid0(VALU_DEP_2) | instskip(NEXT) | instid1(VALU_DEP_2)
	v_cvt_f64_f32_e32 v[7:8], v1
	v_mul_f64_e32 v[5:6], s[10:11], v[5:6]
	s_delay_alu instid0(VALU_DEP_2) | instskip(NEXT) | instid1(VALU_DEP_2)
	v_mul_f64_e32 v[7:8], s[10:11], v[7:8]
	v_and_or_b32 v1, 0x1ff, v6, v5
	s_delay_alu instid0(VALU_DEP_2)
	v_and_or_b32 v7, 0x1ff, v8, v7
	v_lshrrev_b32_e32 v5, 8, v6
	v_bfe_u32 v9, v6, 20, 11
	v_lshrrev_b32_e32 v10, 8, v8
	v_cmp_ne_u32_e32 vcc_lo, 0, v1
	v_bfe_u32 v11, v8, 20, 11
	v_lshrrev_b32_e32 v6, 16, v6
	v_sub_nc_u32_e32 v12, 0x3f1, v9
	v_add_nc_u32_e32 v9, 0xfffffc10, v9
	s_wait_alu 0xfffd
	v_cndmask_b32_e64 v1, 0, 1, vcc_lo
	v_cmp_ne_u32_e32 vcc_lo, 0, v7
	v_lshrrev_b32_e32 v8, 16, v8
	s_delay_alu instid0(VALU_DEP_3) | instskip(SKIP_4) | instid1(VALU_DEP_3)
	v_and_or_b32 v1, 0xffe, v5, v1
	s_wait_alu 0xfffd
	v_cndmask_b32_e64 v7, 0, 1, vcc_lo
	v_sub_nc_u32_e32 v5, 0x3f1, v11
	v_add_nc_u32_e32 v11, 0xfffffc10, v11
	v_and_or_b32 v7, 0xffe, v10, v7
	v_med3_i32 v10, v12, 0, 13
	v_or_b32_e32 v12, 0x1000, v1
	v_med3_i32 v5, v5, 0, 13
	s_delay_alu instid0(VALU_DEP_4) | instskip(NEXT) | instid1(VALU_DEP_3)
	v_or_b32_e32 v13, 0x1000, v7
	v_lshrrev_b32_e32 v14, v10, v12
	s_delay_alu instid0(VALU_DEP_2) | instskip(NEXT) | instid1(VALU_DEP_2)
	v_lshrrev_b32_e32 v15, v5, v13
	v_lshlrev_b32_e32 v10, v10, v14
	s_delay_alu instid0(VALU_DEP_2) | instskip(NEXT) | instid1(VALU_DEP_2)
	v_lshlrev_b32_e32 v5, v5, v15
	v_cmp_ne_u32_e32 vcc_lo, v10, v12
	v_lshl_or_b32 v12, v9, 12, v1
	s_wait_alu 0xfffd
	v_cndmask_b32_e64 v10, 0, 1, vcc_lo
	v_cmp_ne_u32_e32 vcc_lo, v5, v13
	v_lshl_or_b32 v13, v11, 12, v7
	s_delay_alu instid0(VALU_DEP_3) | instskip(SKIP_3) | instid1(VALU_DEP_2)
	v_or_b32_e32 v10, v14, v10
	s_wait_alu 0xfffd
	v_cndmask_b32_e64 v5, 0, 1, vcc_lo
	v_cmp_gt_i32_e32 vcc_lo, 1, v9
	v_or_b32_e32 v5, v15, v5
	s_wait_alu 0xfffd
	v_cndmask_b32_e32 v10, v12, v10, vcc_lo
	v_cmp_gt_i32_e32 vcc_lo, 1, v11
	s_wait_alu 0xfffd
	s_delay_alu instid0(VALU_DEP_2) | instskip(SKIP_2) | instid1(VALU_DEP_3)
	v_dual_cndmask_b32 v5, v13, v5 :: v_dual_and_b32 v12, 7, v10
	v_cmp_ne_u32_e32 vcc_lo, 0, v1
	v_lshrrev_b32_e32 v10, 2, v10
	v_cmp_eq_u32_e64 s0, 3, v12
	s_delay_alu instid0(VALU_DEP_4)
	v_and_b32_e32 v13, 7, v5
	s_wait_alu 0xfffd
	v_cndmask_b32_e64 v1, 0, 1, vcc_lo
	v_cmp_ne_u32_e32 vcc_lo, 0, v7
	v_lshrrev_b32_e32 v5, 2, v5
	v_cmp_lt_i32_e64 s1, 5, v13
	v_cmp_eq_u32_e64 s2, 3, v13
	s_wait_alu 0xfffd
	v_cndmask_b32_e64 v7, 0, 1, vcc_lo
	v_cmp_lt_i32_e32 vcc_lo, 5, v12
	v_lshl_or_b32 v1, v1, 9, 0x7c00
	s_delay_alu instid0(VALU_DEP_3)
	v_lshl_or_b32 v7, v7, 9, 0x7c00
	s_or_b32 vcc_lo, s0, vcc_lo
	s_wait_alu 0xfffe
	v_add_co_ci_u32_e32 v10, vcc_lo, 0, v10, vcc_lo
	s_or_b32 vcc_lo, s2, s1
	s_wait_alu 0xfffe
	v_add_co_ci_u32_e32 v5, vcc_lo, 0, v5, vcc_lo
	v_cmp_gt_i32_e32 vcc_lo, 31, v9
	s_wait_alu 0xfffd
	v_cndmask_b32_e32 v10, 0x7c00, v10, vcc_lo
	v_cmp_gt_i32_e32 vcc_lo, 31, v11
	s_wait_alu 0xfffd
	v_cndmask_b32_e32 v5, 0x7c00, v5, vcc_lo
	v_cmp_eq_u32_e32 vcc_lo, 0x40f, v9
	s_wait_alu 0xfffd
	v_cndmask_b32_e32 v1, v10, v1, vcc_lo
	v_cmp_eq_u32_e32 vcc_lo, 0x40f, v11
	s_delay_alu instid0(VALU_DEP_2)
	v_and_or_b32 v1, 0x8000, v6, v1
	s_wait_alu 0xfffd
	v_cndmask_b32_e32 v5, v5, v7, vcc_lo
	v_add_co_u32 v3, vcc_lo, v3, s4
	s_wait_alu 0xfffd
	v_add_co_ci_u32_e32 v4, vcc_lo, s5, v4, vcc_lo
	s_delay_alu instid0(VALU_DEP_3) | instskip(SKIP_1) | instid1(VALU_DEP_1)
	v_and_or_b32 v5, 0x8000, v8, v5
	v_and_b32_e32 v1, 0xffff, v1
	v_lshl_or_b32 v1, v5, 16, v1
	global_store_b32 v[3:4], v1, off
	global_load_b32 v5, v45, s[8:9] offset:4004
	ds_load_2addr_b32 v[1:2], v2 offset0:105 offset1:182
	s_wait_dscnt 0x0
	v_lshrrev_b32_e32 v6, 16, v1
	s_wait_loadcnt 0x0
	v_lshrrev_b32_e32 v7, 16, v5
	s_delay_alu instid0(VALU_DEP_1) | instskip(SKIP_1) | instid1(VALU_DEP_2)
	v_mul_f16_e32 v8, v6, v7
	v_mul_f16_e32 v7, v1, v7
	v_fmac_f16_e32 v8, v1, v5
	s_delay_alu instid0(VALU_DEP_2) | instskip(NEXT) | instid1(VALU_DEP_2)
	v_fma_f16 v1, v5, v6, -v7
	v_cvt_f32_f16_e32 v5, v8
	s_delay_alu instid0(VALU_DEP_2) | instskip(NEXT) | instid1(VALU_DEP_2)
	v_cvt_f32_f16_e32 v1, v1
	v_cvt_f64_f32_e32 v[5:6], v5
	s_delay_alu instid0(VALU_DEP_2) | instskip(NEXT) | instid1(VALU_DEP_2)
	v_cvt_f64_f32_e32 v[7:8], v1
	v_mul_f64_e32 v[5:6], s[10:11], v[5:6]
	s_delay_alu instid0(VALU_DEP_2) | instskip(NEXT) | instid1(VALU_DEP_2)
	v_mul_f64_e32 v[7:8], s[10:11], v[7:8]
	v_and_or_b32 v1, 0x1ff, v6, v5
	s_delay_alu instid0(VALU_DEP_2)
	v_and_or_b32 v7, 0x1ff, v8, v7
	v_lshrrev_b32_e32 v5, 8, v6
	v_bfe_u32 v9, v6, 20, 11
	v_lshrrev_b32_e32 v10, 8, v8
	v_cmp_ne_u32_e32 vcc_lo, 0, v1
	v_bfe_u32 v11, v8, 20, 11
	v_lshrrev_b32_e32 v6, 16, v6
	v_sub_nc_u32_e32 v12, 0x3f1, v9
	v_add_nc_u32_e32 v9, 0xfffffc10, v9
	s_wait_alu 0xfffd
	v_cndmask_b32_e64 v1, 0, 1, vcc_lo
	v_cmp_ne_u32_e32 vcc_lo, 0, v7
	v_lshrrev_b32_e32 v8, 16, v8
	s_delay_alu instid0(VALU_DEP_3) | instskip(SKIP_4) | instid1(VALU_DEP_3)
	v_and_or_b32 v1, 0xffe, v5, v1
	s_wait_alu 0xfffd
	v_cndmask_b32_e64 v7, 0, 1, vcc_lo
	v_sub_nc_u32_e32 v5, 0x3f1, v11
	v_add_nc_u32_e32 v11, 0xfffffc10, v11
	v_and_or_b32 v7, 0xffe, v10, v7
	v_med3_i32 v10, v12, 0, 13
	v_or_b32_e32 v12, 0x1000, v1
	v_med3_i32 v5, v5, 0, 13
	s_delay_alu instid0(VALU_DEP_4) | instskip(NEXT) | instid1(VALU_DEP_3)
	v_or_b32_e32 v13, 0x1000, v7
	v_lshrrev_b32_e32 v14, v10, v12
	s_delay_alu instid0(VALU_DEP_2) | instskip(NEXT) | instid1(VALU_DEP_2)
	v_lshrrev_b32_e32 v15, v5, v13
	v_lshlrev_b32_e32 v10, v10, v14
	s_delay_alu instid0(VALU_DEP_2) | instskip(NEXT) | instid1(VALU_DEP_2)
	v_lshlrev_b32_e32 v5, v5, v15
	v_cmp_ne_u32_e32 vcc_lo, v10, v12
	v_lshl_or_b32 v12, v9, 12, v1
	s_wait_alu 0xfffd
	v_cndmask_b32_e64 v10, 0, 1, vcc_lo
	v_cmp_ne_u32_e32 vcc_lo, v5, v13
	v_lshl_or_b32 v13, v11, 12, v7
	s_delay_alu instid0(VALU_DEP_3) | instskip(SKIP_3) | instid1(VALU_DEP_2)
	v_or_b32_e32 v10, v14, v10
	s_wait_alu 0xfffd
	v_cndmask_b32_e64 v5, 0, 1, vcc_lo
	v_cmp_gt_i32_e32 vcc_lo, 1, v9
	v_or_b32_e32 v5, v15, v5
	s_wait_alu 0xfffd
	v_cndmask_b32_e32 v10, v12, v10, vcc_lo
	v_cmp_gt_i32_e32 vcc_lo, 1, v11
	s_wait_alu 0xfffd
	s_delay_alu instid0(VALU_DEP_2) | instskip(SKIP_2) | instid1(VALU_DEP_3)
	v_dual_cndmask_b32 v5, v13, v5 :: v_dual_and_b32 v12, 7, v10
	v_cmp_ne_u32_e32 vcc_lo, 0, v1
	v_lshrrev_b32_e32 v10, 2, v10
	v_cmp_eq_u32_e64 s0, 3, v12
	s_delay_alu instid0(VALU_DEP_4)
	v_and_b32_e32 v13, 7, v5
	s_wait_alu 0xfffd
	v_cndmask_b32_e64 v1, 0, 1, vcc_lo
	v_cmp_ne_u32_e32 vcc_lo, 0, v7
	v_lshrrev_b32_e32 v5, 2, v5
	v_cmp_lt_i32_e64 s1, 5, v13
	v_cmp_eq_u32_e64 s2, 3, v13
	s_wait_alu 0xfffd
	v_cndmask_b32_e64 v7, 0, 1, vcc_lo
	v_cmp_lt_i32_e32 vcc_lo, 5, v12
	v_lshl_or_b32 v1, v1, 9, 0x7c00
	s_delay_alu instid0(VALU_DEP_3)
	v_lshl_or_b32 v7, v7, 9, 0x7c00
	s_or_b32 vcc_lo, s0, vcc_lo
	s_wait_alu 0xfffe
	v_add_co_ci_u32_e32 v10, vcc_lo, 0, v10, vcc_lo
	s_or_b32 vcc_lo, s2, s1
	s_wait_alu 0xfffe
	v_add_co_ci_u32_e32 v5, vcc_lo, 0, v5, vcc_lo
	v_cmp_gt_i32_e32 vcc_lo, 31, v9
	s_wait_alu 0xfffd
	v_cndmask_b32_e32 v10, 0x7c00, v10, vcc_lo
	v_cmp_gt_i32_e32 vcc_lo, 31, v11
	s_wait_alu 0xfffd
	v_cndmask_b32_e32 v5, 0x7c00, v5, vcc_lo
	v_cmp_eq_u32_e32 vcc_lo, 0x40f, v9
	s_wait_alu 0xfffd
	v_cndmask_b32_e32 v1, v10, v1, vcc_lo
	v_cmp_eq_u32_e32 vcc_lo, 0x40f, v11
	s_delay_alu instid0(VALU_DEP_2)
	v_and_or_b32 v1, 0x8000, v6, v1
	s_wait_alu 0xfffd
	v_cndmask_b32_e32 v5, v5, v7, vcc_lo
	v_add_co_u32 v3, vcc_lo, v3, s4
	s_wait_alu 0xfffd
	v_add_co_ci_u32_e32 v4, vcc_lo, s5, v4, vcc_lo
	s_delay_alu instid0(VALU_DEP_3) | instskip(SKIP_1) | instid1(VALU_DEP_1)
	v_and_or_b32 v5, 0x8000, v8, v5
	v_and_b32_e32 v1, 0xffff, v1
	v_lshl_or_b32 v1, v5, 16, v1
	v_lshrrev_b32_e32 v5, 16, v2
	global_store_b32 v[3:4], v1, off
	global_load_b32 v1, v45, s[8:9] offset:4312
	s_wait_loadcnt 0x0
	v_lshrrev_b32_e32 v6, 16, v1
	s_delay_alu instid0(VALU_DEP_1) | instskip(SKIP_1) | instid1(VALU_DEP_2)
	v_mul_f16_e32 v7, v5, v6
	v_mul_f16_e32 v6, v2, v6
	v_fmac_f16_e32 v7, v2, v1
	s_delay_alu instid0(VALU_DEP_2) | instskip(NEXT) | instid1(VALU_DEP_2)
	v_fma_f16 v1, v1, v5, -v6
	v_cvt_f32_f16_e32 v2, v7
	s_delay_alu instid0(VALU_DEP_2) | instskip(NEXT) | instid1(VALU_DEP_2)
	v_cvt_f32_f16_e32 v5, v1
	v_cvt_f64_f32_e32 v[1:2], v2
	s_delay_alu instid0(VALU_DEP_2) | instskip(NEXT) | instid1(VALU_DEP_2)
	v_cvt_f64_f32_e32 v[5:6], v5
	v_mul_f64_e32 v[1:2], s[10:11], v[1:2]
	s_delay_alu instid0(VALU_DEP_2) | instskip(NEXT) | instid1(VALU_DEP_2)
	v_mul_f64_e32 v[5:6], s[10:11], v[5:6]
	v_and_or_b32 v1, 0x1ff, v2, v1
	s_delay_alu instid0(VALU_DEP_2)
	v_and_or_b32 v5, 0x1ff, v6, v5
	v_lshrrev_b32_e32 v7, 8, v2
	v_bfe_u32 v8, v2, 20, 11
	v_lshrrev_b32_e32 v9, 8, v6
	v_cmp_ne_u32_e32 vcc_lo, 0, v1
	v_bfe_u32 v10, v6, 20, 11
	v_lshrrev_b32_e32 v2, 16, v2
	v_sub_nc_u32_e32 v11, 0x3f1, v8
	v_add_nc_u32_e32 v8, 0xfffffc10, v8
	s_wait_alu 0xfffd
	v_cndmask_b32_e64 v1, 0, 1, vcc_lo
	v_cmp_ne_u32_e32 vcc_lo, 0, v5
	v_lshrrev_b32_e32 v6, 16, v6
	s_delay_alu instid0(VALU_DEP_3) | instskip(SKIP_4) | instid1(VALU_DEP_3)
	v_and_or_b32 v1, 0xffe, v7, v1
	s_wait_alu 0xfffd
	v_cndmask_b32_e64 v5, 0, 1, vcc_lo
	v_sub_nc_u32_e32 v7, 0x3f1, v10
	v_add_nc_u32_e32 v10, 0xfffffc10, v10
	v_and_or_b32 v5, 0xffe, v9, v5
	v_med3_i32 v9, v11, 0, 13
	v_or_b32_e32 v11, 0x1000, v1
	v_med3_i32 v7, v7, 0, 13
	s_delay_alu instid0(VALU_DEP_4) | instskip(NEXT) | instid1(VALU_DEP_3)
	v_or_b32_e32 v12, 0x1000, v5
	v_lshrrev_b32_e32 v13, v9, v11
	s_delay_alu instid0(VALU_DEP_2) | instskip(NEXT) | instid1(VALU_DEP_2)
	v_lshrrev_b32_e32 v14, v7, v12
	v_lshlrev_b32_e32 v9, v9, v13
	s_delay_alu instid0(VALU_DEP_2) | instskip(NEXT) | instid1(VALU_DEP_2)
	v_lshlrev_b32_e32 v7, v7, v14
	v_cmp_ne_u32_e32 vcc_lo, v9, v11
	v_lshl_or_b32 v11, v8, 12, v1
	s_wait_alu 0xfffd
	v_cndmask_b32_e64 v9, 0, 1, vcc_lo
	v_cmp_ne_u32_e32 vcc_lo, v7, v12
	v_lshl_or_b32 v12, v10, 12, v5
	s_delay_alu instid0(VALU_DEP_3) | instskip(SKIP_3) | instid1(VALU_DEP_2)
	v_or_b32_e32 v9, v13, v9
	s_wait_alu 0xfffd
	v_cndmask_b32_e64 v7, 0, 1, vcc_lo
	v_cmp_gt_i32_e32 vcc_lo, 1, v8
	v_or_b32_e32 v7, v14, v7
	s_wait_alu 0xfffd
	v_cndmask_b32_e32 v9, v11, v9, vcc_lo
	v_cmp_gt_i32_e32 vcc_lo, 1, v10
	s_delay_alu instid0(VALU_DEP_2)
	v_and_b32_e32 v11, 7, v9
	s_wait_alu 0xfffd
	v_cndmask_b32_e32 v7, v12, v7, vcc_lo
	v_cmp_ne_u32_e32 vcc_lo, 0, v1
	v_lshrrev_b32_e32 v9, 2, v9
	v_cmp_eq_u32_e64 s0, 3, v11
	s_delay_alu instid0(VALU_DEP_4)
	v_and_b32_e32 v12, 7, v7
	s_wait_alu 0xfffd
	v_cndmask_b32_e64 v1, 0, 1, vcc_lo
	v_cmp_ne_u32_e32 vcc_lo, 0, v5
	v_lshrrev_b32_e32 v7, 2, v7
	v_cmp_lt_i32_e64 s1, 5, v12
	v_cmp_eq_u32_e64 s2, 3, v12
	s_wait_alu 0xfffd
	v_cndmask_b32_e64 v5, 0, 1, vcc_lo
	v_cmp_lt_i32_e32 vcc_lo, 5, v11
	v_lshl_or_b32 v1, v1, 9, 0x7c00
	s_delay_alu instid0(VALU_DEP_3)
	v_lshl_or_b32 v5, v5, 9, 0x7c00
	s_or_b32 vcc_lo, s0, vcc_lo
	s_wait_alu 0xfffe
	v_add_co_ci_u32_e32 v9, vcc_lo, 0, v9, vcc_lo
	s_or_b32 vcc_lo, s2, s1
	s_wait_alu 0xfffe
	v_add_co_ci_u32_e32 v7, vcc_lo, 0, v7, vcc_lo
	v_cmp_gt_i32_e32 vcc_lo, 31, v8
	s_wait_alu 0xfffd
	v_cndmask_b32_e32 v9, 0x7c00, v9, vcc_lo
	v_cmp_gt_i32_e32 vcc_lo, 31, v10
	s_wait_alu 0xfffd
	v_cndmask_b32_e32 v7, 0x7c00, v7, vcc_lo
	v_cmp_eq_u32_e32 vcc_lo, 0x40f, v8
	s_wait_alu 0xfffd
	v_cndmask_b32_e32 v1, v9, v1, vcc_lo
	v_cmp_eq_u32_e32 vcc_lo, 0x40f, v10
	s_delay_alu instid0(VALU_DEP_2) | instskip(SKIP_2) | instid1(VALU_DEP_1)
	v_and_or_b32 v1, 0x8000, v2, v1
	s_wait_alu 0xfffd
	v_cndmask_b32_e32 v5, v7, v5, vcc_lo
	v_and_or_b32 v5, 0x8000, v6, v5
	s_delay_alu instid0(VALU_DEP_3) | instskip(SKIP_3) | instid1(VALU_DEP_3)
	v_and_b32_e32 v6, 0xffff, v1
	v_add_co_u32 v1, vcc_lo, v3, s4
	s_wait_alu 0xfffd
	v_add_co_ci_u32_e32 v2, vcc_lo, s5, v4, vcc_lo
	v_lshl_or_b32 v3, v5, 16, v6
	global_store_b32 v[1:2], v3, off
	global_load_b32 v5, v45, s[8:9] offset:4620
	ds_load_2addr_b32 v[3:4], v0 offset0:131 offset1:208
	s_wait_dscnt 0x0
	v_lshrrev_b32_e32 v0, 16, v3
	s_wait_loadcnt 0x0
	v_lshrrev_b32_e32 v6, 16, v5
	s_delay_alu instid0(VALU_DEP_1) | instskip(SKIP_1) | instid1(VALU_DEP_2)
	v_mul_f16_e32 v7, v0, v6
	v_mul_f16_e32 v6, v3, v6
	v_fmac_f16_e32 v7, v3, v5
	s_delay_alu instid0(VALU_DEP_2) | instskip(NEXT) | instid1(VALU_DEP_2)
	v_fma_f16 v0, v5, v0, -v6
	v_cvt_f32_f16_e32 v3, v7
	s_delay_alu instid0(VALU_DEP_2) | instskip(NEXT) | instid1(VALU_DEP_2)
	v_cvt_f32_f16_e32 v0, v0
	v_cvt_f64_f32_e32 v[5:6], v3
	s_delay_alu instid0(VALU_DEP_2) | instskip(NEXT) | instid1(VALU_DEP_2)
	v_cvt_f64_f32_e32 v[7:8], v0
	v_mul_f64_e32 v[5:6], s[10:11], v[5:6]
	s_delay_alu instid0(VALU_DEP_2) | instskip(NEXT) | instid1(VALU_DEP_2)
	v_mul_f64_e32 v[7:8], s[10:11], v[7:8]
	v_and_or_b32 v0, 0x1ff, v6, v5
	s_delay_alu instid0(VALU_DEP_2)
	v_and_or_b32 v7, 0x1ff, v8, v7
	v_lshrrev_b32_e32 v3, 8, v6
	v_bfe_u32 v5, v6, 20, 11
	v_lshrrev_b32_e32 v9, 8, v8
	v_cmp_ne_u32_e32 vcc_lo, 0, v0
	v_bfe_u32 v10, v8, 20, 11
	v_lshrrev_b32_e32 v6, 16, v6
	v_sub_nc_u32_e32 v11, 0x3f1, v5
	v_add_nc_u32_e32 v5, 0xfffffc10, v5
	s_wait_alu 0xfffd
	v_cndmask_b32_e64 v0, 0, 1, vcc_lo
	v_cmp_ne_u32_e32 vcc_lo, 0, v7
	s_delay_alu instid0(VALU_DEP_2) | instskip(SKIP_4) | instid1(VALU_DEP_3)
	v_and_or_b32 v0, 0xffe, v3, v0
	s_wait_alu 0xfffd
	v_cndmask_b32_e64 v7, 0, 1, vcc_lo
	v_sub_nc_u32_e32 v3, 0x3f1, v10
	v_add_nc_u32_e32 v10, 0xfffffc10, v10
	v_and_or_b32 v7, 0xffe, v9, v7
	v_med3_i32 v9, v11, 0, 13
	v_or_b32_e32 v11, 0x1000, v0
	v_med3_i32 v3, v3, 0, 13
	s_delay_alu instid0(VALU_DEP_4) | instskip(NEXT) | instid1(VALU_DEP_3)
	v_or_b32_e32 v12, 0x1000, v7
	v_lshrrev_b32_e32 v13, v9, v11
	s_delay_alu instid0(VALU_DEP_2) | instskip(NEXT) | instid1(VALU_DEP_2)
	v_lshrrev_b32_e32 v14, v3, v12
	v_lshlrev_b32_e32 v9, v9, v13
	s_delay_alu instid0(VALU_DEP_2) | instskip(NEXT) | instid1(VALU_DEP_2)
	v_lshlrev_b32_e32 v3, v3, v14
	v_cmp_ne_u32_e32 vcc_lo, v9, v11
	v_lshl_or_b32 v11, v5, 12, v0
	s_wait_alu 0xfffd
	v_cndmask_b32_e64 v9, 0, 1, vcc_lo
	v_cmp_ne_u32_e32 vcc_lo, v3, v12
	v_lshl_or_b32 v12, v10, 12, v7
	s_delay_alu instid0(VALU_DEP_3) | instskip(SKIP_3) | instid1(VALU_DEP_2)
	v_or_b32_e32 v9, v13, v9
	s_wait_alu 0xfffd
	v_cndmask_b32_e64 v3, 0, 1, vcc_lo
	v_cmp_gt_i32_e32 vcc_lo, 1, v5
	v_or_b32_e32 v3, v14, v3
	s_wait_alu 0xfffd
	v_cndmask_b32_e32 v9, v11, v9, vcc_lo
	v_cmp_gt_i32_e32 vcc_lo, 1, v10
	s_delay_alu instid0(VALU_DEP_2)
	v_and_b32_e32 v11, 7, v9
	s_wait_alu 0xfffd
	v_cndmask_b32_e32 v3, v12, v3, vcc_lo
	v_cmp_ne_u32_e32 vcc_lo, 0, v0
	v_lshrrev_b32_e32 v9, 2, v9
	v_cmp_eq_u32_e64 s0, 3, v11
	s_delay_alu instid0(VALU_DEP_4)
	v_and_b32_e32 v12, 7, v3
	s_wait_alu 0xfffd
	v_cndmask_b32_e64 v0, 0, 1, vcc_lo
	v_cmp_ne_u32_e32 vcc_lo, 0, v7
	v_lshrrev_b32_e32 v3, 2, v3
	v_cmp_lt_i32_e64 s1, 5, v12
	v_cmp_eq_u32_e64 s2, 3, v12
	s_wait_alu 0xfffd
	v_cndmask_b32_e64 v7, 0, 1, vcc_lo
	v_cmp_lt_i32_e32 vcc_lo, 5, v11
	v_lshl_or_b32 v0, v0, 9, 0x7c00
	s_delay_alu instid0(VALU_DEP_3)
	v_lshl_or_b32 v7, v7, 9, 0x7c00
	s_or_b32 vcc_lo, s0, vcc_lo
	s_wait_alu 0xfffe
	v_add_co_ci_u32_e32 v9, vcc_lo, 0, v9, vcc_lo
	s_or_b32 vcc_lo, s2, s1
	s_wait_alu 0xfffe
	v_add_co_ci_u32_e32 v3, vcc_lo, 0, v3, vcc_lo
	v_cmp_gt_i32_e32 vcc_lo, 31, v5
	s_wait_alu 0xfffd
	v_cndmask_b32_e32 v9, 0x7c00, v9, vcc_lo
	v_cmp_gt_i32_e32 vcc_lo, 31, v10
	s_wait_alu 0xfffd
	v_cndmask_b32_e32 v3, 0x7c00, v3, vcc_lo
	v_cmp_eq_u32_e32 vcc_lo, 0x40f, v5
	v_lshrrev_b32_e32 v5, 16, v8
	s_wait_alu 0xfffd
	v_cndmask_b32_e32 v0, v9, v0, vcc_lo
	v_cmp_eq_u32_e32 vcc_lo, 0x40f, v10
	s_delay_alu instid0(VALU_DEP_2) | instskip(SKIP_2) | instid1(VALU_DEP_1)
	v_and_or_b32 v0, 0x8000, v6, v0
	s_wait_alu 0xfffd
	v_cndmask_b32_e32 v3, v3, v7, vcc_lo
	v_and_or_b32 v3, 0x8000, v5, v3
	s_delay_alu instid0(VALU_DEP_3) | instskip(SKIP_3) | instid1(VALU_DEP_3)
	v_and_b32_e32 v5, 0xffff, v0
	v_add_co_u32 v0, vcc_lo, v1, s4
	s_wait_alu 0xfffd
	v_add_co_ci_u32_e32 v1, vcc_lo, s5, v2, vcc_lo
	v_lshl_or_b32 v2, v3, 16, v5
	v_lshrrev_b32_e32 v3, 16, v4
	global_store_b32 v[0:1], v2, off
	global_load_b32 v2, v45, s[8:9] offset:4928
	s_wait_loadcnt 0x0
	v_lshrrev_b32_e32 v5, 16, v2
	s_delay_alu instid0(VALU_DEP_1) | instskip(SKIP_1) | instid1(VALU_DEP_2)
	v_mul_f16_e32 v6, v3, v5
	v_mul_f16_e32 v5, v4, v5
	v_fmac_f16_e32 v6, v4, v2
	s_delay_alu instid0(VALU_DEP_2) | instskip(NEXT) | instid1(VALU_DEP_2)
	v_fma_f16 v2, v2, v3, -v5
	v_cvt_f32_f16_e32 v3, v6
	s_delay_alu instid0(VALU_DEP_2) | instskip(NEXT) | instid1(VALU_DEP_2)
	v_cvt_f32_f16_e32 v4, v2
	v_cvt_f64_f32_e32 v[2:3], v3
	s_delay_alu instid0(VALU_DEP_2) | instskip(NEXT) | instid1(VALU_DEP_2)
	v_cvt_f64_f32_e32 v[4:5], v4
	v_mul_f64_e32 v[2:3], s[10:11], v[2:3]
	s_delay_alu instid0(VALU_DEP_2) | instskip(NEXT) | instid1(VALU_DEP_2)
	v_mul_f64_e32 v[4:5], s[10:11], v[4:5]
	v_and_or_b32 v2, 0x1ff, v3, v2
	s_delay_alu instid0(VALU_DEP_2)
	v_and_or_b32 v4, 0x1ff, v5, v4
	v_lshrrev_b32_e32 v6, 8, v3
	v_bfe_u32 v7, v3, 20, 11
	v_lshrrev_b32_e32 v8, 8, v5
	v_cmp_ne_u32_e32 vcc_lo, 0, v2
	v_bfe_u32 v9, v5, 20, 11
	v_lshrrev_b32_e32 v3, 16, v3
	v_sub_nc_u32_e32 v10, 0x3f1, v7
	v_add_nc_u32_e32 v7, 0xfffffc10, v7
	s_wait_alu 0xfffd
	v_cndmask_b32_e64 v2, 0, 1, vcc_lo
	v_cmp_ne_u32_e32 vcc_lo, 0, v4
	v_lshrrev_b32_e32 v5, 16, v5
	s_delay_alu instid0(VALU_DEP_3) | instskip(SKIP_4) | instid1(VALU_DEP_3)
	v_and_or_b32 v2, 0xffe, v6, v2
	s_wait_alu 0xfffd
	v_cndmask_b32_e64 v4, 0, 1, vcc_lo
	v_sub_nc_u32_e32 v6, 0x3f1, v9
	v_add_nc_u32_e32 v9, 0xfffffc10, v9
	v_and_or_b32 v4, 0xffe, v8, v4
	v_med3_i32 v8, v10, 0, 13
	v_or_b32_e32 v10, 0x1000, v2
	v_med3_i32 v6, v6, 0, 13
	s_delay_alu instid0(VALU_DEP_4) | instskip(NEXT) | instid1(VALU_DEP_3)
	v_or_b32_e32 v11, 0x1000, v4
	v_lshrrev_b32_e32 v12, v8, v10
	s_delay_alu instid0(VALU_DEP_2) | instskip(NEXT) | instid1(VALU_DEP_2)
	v_lshrrev_b32_e32 v13, v6, v11
	v_lshlrev_b32_e32 v8, v8, v12
	s_delay_alu instid0(VALU_DEP_2) | instskip(NEXT) | instid1(VALU_DEP_2)
	v_lshlrev_b32_e32 v6, v6, v13
	v_cmp_ne_u32_e32 vcc_lo, v8, v10
	v_lshl_or_b32 v10, v7, 12, v2
	s_wait_alu 0xfffd
	v_cndmask_b32_e64 v8, 0, 1, vcc_lo
	v_cmp_ne_u32_e32 vcc_lo, v6, v11
	v_lshl_or_b32 v11, v9, 12, v4
	s_delay_alu instid0(VALU_DEP_3) | instskip(SKIP_3) | instid1(VALU_DEP_2)
	v_or_b32_e32 v8, v12, v8
	s_wait_alu 0xfffd
	v_cndmask_b32_e64 v6, 0, 1, vcc_lo
	v_cmp_gt_i32_e32 vcc_lo, 1, v7
	v_or_b32_e32 v6, v13, v6
	s_wait_alu 0xfffd
	v_cndmask_b32_e32 v8, v10, v8, vcc_lo
	v_cmp_gt_i32_e32 vcc_lo, 1, v9
	s_delay_alu instid0(VALU_DEP_2)
	v_and_b32_e32 v10, 7, v8
	s_wait_alu 0xfffd
	v_cndmask_b32_e32 v6, v11, v6, vcc_lo
	v_cmp_ne_u32_e32 vcc_lo, 0, v2
	v_lshrrev_b32_e32 v8, 2, v8
	v_cmp_eq_u32_e64 s0, 3, v10
	s_delay_alu instid0(VALU_DEP_4)
	v_and_b32_e32 v11, 7, v6
	s_wait_alu 0xfffd
	v_cndmask_b32_e64 v2, 0, 1, vcc_lo
	v_cmp_ne_u32_e32 vcc_lo, 0, v4
	v_lshrrev_b32_e32 v6, 2, v6
	v_cmp_lt_i32_e64 s1, 5, v11
	v_cmp_eq_u32_e64 s2, 3, v11
	s_wait_alu 0xfffd
	v_cndmask_b32_e64 v4, 0, 1, vcc_lo
	v_cmp_lt_i32_e32 vcc_lo, 5, v10
	v_lshl_or_b32 v2, v2, 9, 0x7c00
	s_delay_alu instid0(VALU_DEP_3)
	v_lshl_or_b32 v4, v4, 9, 0x7c00
	s_or_b32 vcc_lo, s0, vcc_lo
	s_wait_alu 0xfffe
	v_add_co_ci_u32_e32 v8, vcc_lo, 0, v8, vcc_lo
	s_or_b32 vcc_lo, s2, s1
	s_wait_alu 0xfffe
	v_add_co_ci_u32_e32 v6, vcc_lo, 0, v6, vcc_lo
	v_cmp_gt_i32_e32 vcc_lo, 31, v7
	s_wait_alu 0xfffd
	v_cndmask_b32_e32 v8, 0x7c00, v8, vcc_lo
	v_cmp_gt_i32_e32 vcc_lo, 31, v9
	s_wait_alu 0xfffd
	v_cndmask_b32_e32 v6, 0x7c00, v6, vcc_lo
	v_cmp_eq_u32_e32 vcc_lo, 0x40f, v7
	s_wait_alu 0xfffd
	v_cndmask_b32_e32 v2, v8, v2, vcc_lo
	v_cmp_eq_u32_e32 vcc_lo, 0x40f, v9
	s_delay_alu instid0(VALU_DEP_2)
	v_and_or_b32 v2, 0x8000, v3, v2
	s_wait_alu 0xfffd
	v_cndmask_b32_e32 v4, v6, v4, vcc_lo
	v_add_co_u32 v0, vcc_lo, v0, s4
	s_wait_alu 0xfffd
	v_add_co_ci_u32_e32 v1, vcc_lo, s5, v1, vcc_lo
	v_and_b32_e32 v2, 0xffff, v2
	v_and_or_b32 v3, 0x8000, v5, v4
	s_delay_alu instid0(VALU_DEP_1)
	v_lshl_or_b32 v2, v3, 16, v2
	global_store_b32 v[0:1], v2, off
.LBB0_23:
	s_nop 0
	s_sendmsg sendmsg(MSG_DEALLOC_VGPRS)
	s_endpgm
	.section	.rodata,"a",@progbits
	.p2align	6, 0x0
	.amdhsa_kernel bluestein_single_back_len1309_dim1_half_op_CI_CI
		.amdhsa_group_segment_fixed_size 5236
		.amdhsa_private_segment_fixed_size 0
		.amdhsa_kernarg_size 104
		.amdhsa_user_sgpr_count 2
		.amdhsa_user_sgpr_dispatch_ptr 0
		.amdhsa_user_sgpr_queue_ptr 0
		.amdhsa_user_sgpr_kernarg_segment_ptr 1
		.amdhsa_user_sgpr_dispatch_id 0
		.amdhsa_user_sgpr_private_segment_size 0
		.amdhsa_wavefront_size32 1
		.amdhsa_uses_dynamic_stack 0
		.amdhsa_enable_private_segment 0
		.amdhsa_system_sgpr_workgroup_id_x 1
		.amdhsa_system_sgpr_workgroup_id_y 0
		.amdhsa_system_sgpr_workgroup_id_z 0
		.amdhsa_system_sgpr_workgroup_info 0
		.amdhsa_system_vgpr_workitem_id 0
		.amdhsa_next_free_vgpr 218
		.amdhsa_next_free_sgpr 14
		.amdhsa_reserve_vcc 1
		.amdhsa_float_round_mode_32 0
		.amdhsa_float_round_mode_16_64 0
		.amdhsa_float_denorm_mode_32 3
		.amdhsa_float_denorm_mode_16_64 3
		.amdhsa_fp16_overflow 0
		.amdhsa_workgroup_processor_mode 1
		.amdhsa_memory_ordered 1
		.amdhsa_forward_progress 0
		.amdhsa_round_robin_scheduling 0
		.amdhsa_exception_fp_ieee_invalid_op 0
		.amdhsa_exception_fp_denorm_src 0
		.amdhsa_exception_fp_ieee_div_zero 0
		.amdhsa_exception_fp_ieee_overflow 0
		.amdhsa_exception_fp_ieee_underflow 0
		.amdhsa_exception_fp_ieee_inexact 0
		.amdhsa_exception_int_div_zero 0
	.end_amdhsa_kernel
	.text
.Lfunc_end0:
	.size	bluestein_single_back_len1309_dim1_half_op_CI_CI, .Lfunc_end0-bluestein_single_back_len1309_dim1_half_op_CI_CI
                                        ; -- End function
	.section	.AMDGPU.csdata,"",@progbits
; Kernel info:
; codeLenInByte = 37764
; NumSgprs: 16
; NumVgprs: 218
; ScratchSize: 0
; MemoryBound: 0
; FloatMode: 240
; IeeeMode: 1
; LDSByteSize: 5236 bytes/workgroup (compile time only)
; SGPRBlocks: 1
; VGPRBlocks: 27
; NumSGPRsForWavesPerEU: 16
; NumVGPRsForWavesPerEU: 218
; Occupancy: 6
; WaveLimiterHint : 1
; COMPUTE_PGM_RSRC2:SCRATCH_EN: 0
; COMPUTE_PGM_RSRC2:USER_SGPR: 2
; COMPUTE_PGM_RSRC2:TRAP_HANDLER: 0
; COMPUTE_PGM_RSRC2:TGID_X_EN: 1
; COMPUTE_PGM_RSRC2:TGID_Y_EN: 0
; COMPUTE_PGM_RSRC2:TGID_Z_EN: 0
; COMPUTE_PGM_RSRC2:TIDIG_COMP_CNT: 0
	.text
	.p2alignl 7, 3214868480
	.fill 96, 4, 3214868480
	.type	__hip_cuid_d1d9138bfcd47bdf,@object ; @__hip_cuid_d1d9138bfcd47bdf
	.section	.bss,"aw",@nobits
	.globl	__hip_cuid_d1d9138bfcd47bdf
__hip_cuid_d1d9138bfcd47bdf:
	.byte	0                               ; 0x0
	.size	__hip_cuid_d1d9138bfcd47bdf, 1

	.ident	"AMD clang version 19.0.0git (https://github.com/RadeonOpenCompute/llvm-project roc-6.4.0 25133 c7fe45cf4b819c5991fe208aaa96edf142730f1d)"
	.section	".note.GNU-stack","",@progbits
	.addrsig
	.addrsig_sym __hip_cuid_d1d9138bfcd47bdf
	.amdgpu_metadata
---
amdhsa.kernels:
  - .args:
      - .actual_access:  read_only
        .address_space:  global
        .offset:         0
        .size:           8
        .value_kind:     global_buffer
      - .actual_access:  read_only
        .address_space:  global
        .offset:         8
        .size:           8
        .value_kind:     global_buffer
      - .actual_access:  read_only
        .address_space:  global
        .offset:         16
        .size:           8
        .value_kind:     global_buffer
      - .actual_access:  read_only
        .address_space:  global
        .offset:         24
        .size:           8
        .value_kind:     global_buffer
      - .actual_access:  read_only
        .address_space:  global
        .offset:         32
        .size:           8
        .value_kind:     global_buffer
      - .offset:         40
        .size:           8
        .value_kind:     by_value
      - .address_space:  global
        .offset:         48
        .size:           8
        .value_kind:     global_buffer
      - .address_space:  global
        .offset:         56
        .size:           8
        .value_kind:     global_buffer
      - .address_space:  global
        .offset:         64
        .size:           8
        .value_kind:     global_buffer
      - .address_space:  global
        .offset:         72
        .size:           8
        .value_kind:     global_buffer
      - .offset:         80
        .size:           4
        .value_kind:     by_value
      - .address_space:  global
        .offset:         88
        .size:           8
        .value_kind:     global_buffer
      - .address_space:  global
        .offset:         96
        .size:           8
        .value_kind:     global_buffer
    .group_segment_fixed_size: 5236
    .kernarg_segment_align: 8
    .kernarg_segment_size: 104
    .language:       OpenCL C
    .language_version:
      - 2
      - 0
    .max_flat_workgroup_size: 119
    .name:           bluestein_single_back_len1309_dim1_half_op_CI_CI
    .private_segment_fixed_size: 0
    .sgpr_count:     16
    .sgpr_spill_count: 0
    .symbol:         bluestein_single_back_len1309_dim1_half_op_CI_CI.kd
    .uniform_work_group_size: 1
    .uses_dynamic_stack: false
    .vgpr_count:     218
    .vgpr_spill_count: 0
    .wavefront_size: 32
    .workgroup_processor_mode: 1
amdhsa.target:   amdgcn-amd-amdhsa--gfx1201
amdhsa.version:
  - 1
  - 2
...

	.end_amdgpu_metadata
